;; amdgpu-corpus repo=ROCm/rocFFT kind=compiled arch=gfx950 opt=O3
	.text
	.amdgcn_target "amdgcn-amd-amdhsa--gfx950"
	.amdhsa_code_object_version 6
	.protected	bluestein_single_fwd_len2430_dim1_sp_op_CI_CI ; -- Begin function bluestein_single_fwd_len2430_dim1_sp_op_CI_CI
	.globl	bluestein_single_fwd_len2430_dim1_sp_op_CI_CI
	.p2align	8
	.type	bluestein_single_fwd_len2430_dim1_sp_op_CI_CI,@function
bluestein_single_fwd_len2430_dim1_sp_op_CI_CI: ; @bluestein_single_fwd_len2430_dim1_sp_op_CI_CI
; %bb.0:
	s_load_dwordx4 s[12:15], s[0:1], 0x28
	v_mul_u32_u24_e32 v1, 0x32a, v0
	v_add_u32_sdwa v160, s2, v1 dst_sel:DWORD dst_unused:UNUSED_PAD src0_sel:DWORD src1_sel:WORD_1
	v_mov_b32_e32 v161, 0
	s_movk_i32 s20, 0x32a
	s_waitcnt lgkmcnt(0)
	v_cmp_gt_u64_e32 vcc, s[12:13], v[160:161]
	s_and_saveexec_b64 s[2:3], vcc
	s_cbranch_execz .LBB0_2
; %bb.1:
	s_load_dwordx4 s[4:7], s[0:1], 0x0
	s_load_dwordx4 s[8:11], s[0:1], 0x18
	s_load_dwordx2 s[2:3], s[0:1], 0x38
	s_movk_i32 s0, 0x51
	v_mul_lo_u16_sdwa v1, v1, s0 dst_sel:DWORD dst_unused:UNUSED_PAD src0_sel:WORD_1 src1_sel:DWORD
	s_mov_b32 s0, 0
	v_mov_b32_e32 v57, s0
	s_waitcnt lgkmcnt(0)
	v_mov_b32_e32 v4, s2
	v_mov_b32_e32 v5, s3
	s_load_dwordx4 s[0:3], s[10:11], 0x0
	v_accvgpr_write_b32 a7, v5
	v_accvgpr_write_b32 a6, v4
	v_sub_u16_e32 v56, v0, v1
	v_mov_b32_e32 v2, s14
	s_waitcnt lgkmcnt(0)
	v_mad_u64_u32 v[4:5], s[10:11], s2, v160, 0
	s_load_dwordx4 s[8:11], s[8:9], 0x0
	v_mov_b32_e32 v0, v5
	v_mad_u64_u32 v[0:1], s[2:3], s3, v160, v[0:1]
	v_mov_b32_e32 v5, v0
	v_accvgpr_write_b32 a15, v5
	s_waitcnt lgkmcnt(0)
	v_mad_u64_u32 v[0:1], s[2:3], s10, v160, 0
	v_accvgpr_write_b32 a14, v4
	v_mov_b32_e32 v4, v1
	v_mad_u64_u32 v[4:5], s[2:3], s11, v160, v[4:5]
	v_mov_b32_e32 v1, v4
	v_mad_u64_u32 v[4:5], s[2:3], s8, v56, 0
	v_mov_b32_e32 v6, v5
	v_mov_b32_e32 v3, s15
	v_mad_u64_u32 v[6:7], s[2:3], s9, v56, v[6:7]
	v_mov_b32_e32 v5, v6
	v_lshl_add_u64 v[0:1], v[0:1], 3, v[2:3]
	v_lshl_add_u64 v[2:3], v[4:5], 3, v[0:1]
	v_lshlrev_b32_e32 v160, 3, v56
	global_load_dwordx2 v[4:5], v[2:3], off
	global_load_dwordx2 v[6:7], v160, s[4:5]
	s_mov_b64 s[2:3], 0xf3
	v_mov_b32_e32 v14, 0x798
	v_lshl_add_u64 v[58:59], v[56:57], 0, s[2:3]
	v_mad_u64_u32 v[2:3], s[2:3], s8, v14, v[2:3]
	s_mul_i32 s2, s9, 0x798
	s_nop 0
	v_add_u32_e32 v3, s2, v3
	s_mov_b64 s[10:11], 0x1e6
	v_lshl_add_u64 v[162:163], v[56:57], 0, s[10:11]
	v_lshl_add_u64 v[208:209], s[4:5], 0, v[160:161]
	s_movk_i32 s3, 0x2000
	v_mov_b32_e32 v26, 0x798
	v_mov_b32_e32 v28, 0xffffbe30
	v_add_u32_e32 v254, 0x1800, v160
	s_mov_b32 s16, 0x3f4f1bbd
	s_mov_b32 s18, 0xbf737871
	s_mov_b32 s14, 0xbe9e377a
	s_waitcnt vmcnt(0)
	v_accvgpr_write_b32 a41, v7
	v_mul_f32_e32 v0, v5, v7
	v_mul_f32_e32 v1, v4, v7
	v_fmac_f32_e32 v0, v4, v6
	v_fma_f32 v1, v5, v6, -v1
	global_load_dwordx2 v[4:5], v[2:3], off
	global_load_dwordx2 v[8:9], v160, s[4:5] offset:1944
	v_accvgpr_write_b32 a40, v6
	v_mad_u64_u32 v[2:3], s[10:11], s8, v14, v[2:3]
	v_add_u32_e32 v3, s2, v3
	s_mov_b64 s[10:11], 0x2d9
	v_lshl_add_u64 v[202:203], v[56:57], 0, s[10:11]
	s_waitcnt vmcnt(0)
	v_mul_f32_e32 v6, v5, v9
	v_fmac_f32_e32 v6, v4, v8
	v_mul_f32_e32 v4, v4, v9
	v_fma_f32 v7, v5, v8, -v4
	v_accvgpr_write_b32 a37, v9
	ds_write_b64 v160, v[6:7] offset:1944
	v_accvgpr_write_b32 a36, v8
	global_load_dwordx2 v[4:5], v[2:3], off
	global_load_dwordx2 v[8:9], v160, s[4:5] offset:3888
	v_mad_u64_u32 v[2:3], s[10:11], s8, v14, v[2:3]
	s_movk_i32 s11, 0x1000
	v_add_u32_e32 v3, s2, v3
	s_mov_b32 s10, 0x3f737871
	s_mov_b32 s19, s10
	;; [unrolled: 1-line block ×3, first 2 shown]
	s_waitcnt vmcnt(0)
	v_mul_f32_e32 v6, v5, v9
	v_fmac_f32_e32 v6, v4, v8
	v_mul_f32_e32 v4, v4, v9
	v_fma_f32 v7, v5, v8, -v4
	ds_write_b64 v160, v[6:7] offset:3888
	v_add_co_u32_e32 v6, vcc, s11, v208
	global_load_dwordx2 v[4:5], v[2:3], off
	s_nop 0
	v_addc_co_u32_e32 v7, vcc, 0, v209, vcc
	global_load_dwordx2 v[10:11], v[6:7], off offset:1736
	v_accvgpr_write_b32 a27, v9
	v_accvgpr_write_b32 a26, v8
	v_mad_u64_u32 v[2:3], s[12:13], s8, v14, v[2:3]
	v_add_u32_e32 v3, s2, v3
	s_waitcnt vmcnt(0)
	v_mul_f32_e32 v8, v5, v11
	v_fmac_f32_e32 v8, v4, v10
	v_mul_f32_e32 v4, v4, v11
	v_fma_f32 v9, v5, v10, -v4
	v_accvgpr_write_b32 a33, v11
	ds_write_b64 v160, v[8:9] offset:5832
	v_accvgpr_write_b32 a32, v10
	global_load_dwordx2 v[4:5], v[2:3], off
	global_load_dwordx2 v[10:11], v[6:7], off offset:3680
	v_mad_u64_u32 v[2:3], s[12:13], s8, v14, v[2:3]
	v_add_u32_e32 v3, s2, v3
	s_waitcnt vmcnt(0)
	v_mul_f32_e32 v8, v5, v11
	v_fmac_f32_e32 v8, v4, v10
	v_mul_f32_e32 v4, v4, v11
	v_fma_f32 v9, v5, v10, -v4
	v_add_co_u32_e32 v4, vcc, s3, v208
	ds_write_b64 v160, v[8:9] offset:7776
	s_nop 0
	v_addc_co_u32_e32 v5, vcc, 0, v209, vcc
	global_load_dwordx2 v[8:9], v[2:3], off
	global_load_dwordx2 v[12:13], v[4:5], off offset:1528
	v_accvgpr_write_b32 a25, v11
	v_accvgpr_write_b32 a24, v10
	v_mad_u64_u32 v[2:3], s[12:13], s8, v14, v[2:3]
	v_add_u32_e32 v3, s2, v3
	s_movk_i32 s3, 0x3000
	s_waitcnt vmcnt(0)
	v_mul_f32_e32 v10, v9, v13
	v_fmac_f32_e32 v10, v8, v12
	v_mul_f32_e32 v8, v8, v13
	v_fma_f32 v11, v9, v12, -v8
	v_accvgpr_write_b32 a31, v13
	ds_write_b64 v160, v[10:11] offset:9720
	v_accvgpr_write_b32 a30, v12
	global_load_dwordx2 v[8:9], v[2:3], off
	global_load_dwordx2 v[12:13], v[4:5], off offset:3472
	s_waitcnt vmcnt(0)
	v_mul_f32_e32 v10, v9, v13
	v_fmac_f32_e32 v10, v8, v12
	v_mul_f32_e32 v8, v8, v13
	v_fma_f32 v11, v9, v12, -v8
	v_mad_u64_u32 v[8:9], s[12:13], s8, v14, v[2:3]
	v_add_co_u32_e32 v2, vcc, s3, v208
	v_add_u32_e32 v9, s2, v9
	s_nop 0
	v_addc_co_u32_e32 v3, vcc, 0, v209, vcc
	ds_write_b64 v160, v[10:11] offset:11664
	global_load_dwordx2 v[10:11], v[8:9], off
	global_load_dwordx2 v[16:17], v[2:3], off offset:1320
	v_accvgpr_write_b32 a21, v13
	v_accvgpr_write_b32 a20, v12
	v_mad_u64_u32 v[8:9], s[12:13], s8, v14, v[8:9]
	v_add_u32_e32 v9, s2, v9
	s_movk_i32 s3, 0x4000
	v_add_co_u32_e32 v200, vcc, s3, v208
	s_mul_i32 s3, s9, 0xffffbe30
	s_nop 0
	v_addc_co_u32_e32 v201, vcc, 0, v209, vcc
	s_sub_i32 s3, s3, s8
	v_cmp_gt_u16_e32 vcc, 9, v56
	s_waitcnt vmcnt(0)
	v_mul_f32_e32 v12, v11, v17
	v_fmac_f32_e32 v12, v10, v16
	v_mul_f32_e32 v10, v10, v17
	v_fma_f32 v13, v11, v16, -v10
	v_accvgpr_write_b32 a29, v17
	ds_write_b64 v160, v[12:13] offset:13608
	v_accvgpr_write_b32 a28, v16
	global_load_dwordx2 v[10:11], v[8:9], off
	global_load_dwordx2 v[16:17], v[2:3], off offset:3264
	v_mad_u64_u32 v[8:9], s[12:13], s8, v14, v[8:9]
	v_add_u32_e32 v9, s2, v9
	global_load_dwordx2 v[14:15], v[200:201], off offset:1112
	s_mov_b64 s[12:13], 0x51
	v_lshl_add_u64 v[54:55], v[56:57], 0, s[12:13]
	s_waitcnt vmcnt(1)
	v_mul_f32_e32 v12, v11, v17
	v_fmac_f32_e32 v12, v10, v16
	v_mul_f32_e32 v10, v10, v17
	v_fma_f32 v13, v11, v16, -v10
	global_load_dwordx2 v[10:11], v[8:9], off
	ds_write_b64 v160, v[12:13] offset:15552
	s_waitcnt vmcnt(1)
	v_accvgpr_write_b32 a12, v14
	v_accvgpr_write_b32 a13, v15
	;; [unrolled: 1-line block ×4, first 2 shown]
	s_waitcnt vmcnt(0)
	v_mul_f32_e32 v12, v11, v15
	v_fmac_f32_e32 v12, v10, v14
	v_mul_f32_e32 v10, v10, v15
	v_fma_f32 v13, v11, v14, -v10
	v_mov_b32_e32 v10, 0xffffbe30
	v_mad_u64_u32 v[8:9], s[12:13], s8, v10, v[8:9]
	ds_write_b64 v160, v[12:13] offset:17496
	v_add_u32_e32 v9, s3, v9
	global_load_dwordx2 v[10:11], v[8:9], off
	global_load_dwordx2 v[14:15], v160, s[4:5] offset:648
	s_mov_b64 s[12:13], 0x144
	v_lshl_add_u64 v[166:167], v[56:57], 0, s[12:13]
	s_waitcnt vmcnt(0)
	v_mul_f32_e32 v12, v11, v15
	v_fmac_f32_e32 v12, v10, v14
	v_mul_f32_e32 v10, v10, v15
	v_fma_f32 v13, v11, v14, -v10
	v_mov_b32_e32 v10, 0x798
	ds_write2_b64 v160, v[0:1], v[12:13] offset1:81
	v_mad_u64_u32 v[0:1], s[12:13], s8, v10, v[8:9]
	v_add_u32_e32 v1, s2, v1
	global_load_dwordx2 v[8:9], v[0:1], off
	global_load_dwordx2 v[12:13], v160, s[4:5] offset:2592
	s_mov_b64 s[12:13], 0x237
	v_lshl_add_u64 v[164:165], v[56:57], 0, s[12:13]
	v_mad_u64_u32 v[0:1], s[12:13], s8, v10, v[0:1]
	v_add_u32_e32 v1, s2, v1
	v_accvgpr_write_b32 a43, v15
	v_accvgpr_write_b32 a42, v14
	s_waitcnt vmcnt(0)
	v_mul_f32_e32 v22, v9, v13
	v_fmac_f32_e32 v22, v8, v12
	v_mul_f32_e32 v8, v8, v13
	v_accvgpr_write_b32 a39, v13
	v_fma_f32 v23, v9, v12, -v8
	v_accvgpr_write_b32 a38, v12
	global_load_dwordx2 v[8:9], v[0:1], off
	global_load_dwordx2 v[12:13], v[6:7], off offset:440
	v_mad_u64_u32 v[0:1], s[12:13], s8, v10, v[0:1]
	v_add_u32_e32 v1, s2, v1
	s_waitcnt vmcnt(0)
	v_mul_f32_e32 v20, v9, v13
	v_fmac_f32_e32 v20, v8, v12
	v_mul_f32_e32 v8, v8, v13
	v_accvgpr_write_b32 a35, v13
	v_fma_f32 v21, v9, v12, -v8
	v_accvgpr_write_b32 a34, v12
	global_load_dwordx2 v[8:9], v[0:1], off
	global_load_dwordx2 v[12:13], v[6:7], off offset:2384
	v_mad_u64_u32 v[0:1], s[12:13], s8, v10, v[0:1]
	v_add_u32_e32 v1, s2, v1
	;; [unrolled: 11-line block ×4, first 2 shown]
	v_mov_b32_e32 v10, 0x798
	s_waitcnt vmcnt(0)
	v_mul_f32_e32 v14, v9, v13
	v_fmac_f32_e32 v14, v8, v12
	v_mul_f32_e32 v8, v8, v13
	v_fma_f32 v15, v9, v12, -v8
	global_load_dwordx2 v[8:9], v[0:1], off
	global_load_dwordx2 v[24:25], v[2:3], off offset:24
	v_accvgpr_write_b32 a10, v12
	v_accvgpr_write_b32 a11, v13
	v_mad_u64_u32 v[0:1], s[12:13], s8, v10, v[0:1]
	v_add_u32_e32 v1, s2, v1
	s_waitcnt vmcnt(0)
	v_mul_f32_e32 v12, v9, v25
	v_fmac_f32_e32 v12, v8, v24
	v_mul_f32_e32 v8, v8, v25
	v_accvgpr_write_b32 a8, v24
	v_fma_f32 v13, v9, v24, -v8
	v_accvgpr_write_b32 a9, v25
	global_load_dwordx2 v[8:9], v[0:1], off
	global_load_dwordx2 v[24:25], v[2:3], off offset:1968
	v_mad_u64_u32 v[0:1], s[12:13], s8, v26, v[0:1]
	v_add_u32_e32 v1, s2, v1
	s_waitcnt vmcnt(0)
	v_mul_f32_e32 v10, v9, v25
	v_fmac_f32_e32 v10, v8, v24
	v_mul_f32_e32 v8, v8, v25
	v_accvgpr_write_b32 a4, v24
	v_fma_f32 v11, v9, v24, -v8
	v_accvgpr_write_b32 a5, v25
	global_load_dwordx2 v[24:25], v[0:1], off
	global_load_dwordx2 v[30:31], v[2:3], off offset:3912
	s_waitcnt vmcnt(0)
	v_mul_f32_e32 v8, v25, v31
	v_mul_f32_e32 v9, v24, v31
	v_fmac_f32_e32 v8, v24, v30
	v_fma_f32 v9, v25, v30, -v9
	v_mad_u64_u32 v[24:25], s[12:13], s8, v26, v[0:1]
	v_add_u32_e32 v25, s2, v25
	global_load_dwordx2 v[26:27], v[24:25], off
	global_load_dwordx2 v[32:33], v[200:201], off offset:1760
	s_mov_b64 s[12:13], 0xa2
	v_lshl_add_u64 v[126:127], v[56:57], 0, s[12:13]
	v_mad_u64_u32 v[24:25], s[12:13], s8, v28, v[24:25]
	v_add_u32_e32 v25, s3, v25
	v_accvgpr_write_b32 a2, v30
	v_accvgpr_write_b32 a3, v31
	v_mov_b32_e32 v30, 0x798
	s_mov_b64 s[12:13], 0x195
	v_lshl_add_u64 v[168:169], v[56:57], 0, s[12:13]
	v_add_u32_e32 v127, 0x3800, v160
	s_waitcnt vmcnt(0)
	v_mul_f32_e32 v0, v27, v33
	v_mul_f32_e32 v1, v26, v33
	v_accvgpr_write_b32 a0, v32
	v_fmac_f32_e32 v0, v26, v32
	v_fma_f32 v1, v27, v32, -v1
	v_accvgpr_write_b32 a1, v33
	global_load_dwordx2 v[26:27], v[24:25], off
	global_load_dwordx2 v[32:33], v160, s[4:5] offset:1296
	v_mad_u64_u32 v[24:25], s[12:13], s8, v30, v[24:25]
	v_add_u32_e32 v25, s2, v25
	s_mov_b32 s12, 0xbf4f1bbd
	s_waitcnt vmcnt(0)
	v_mul_f32_e32 v28, v27, v33
	v_fmac_f32_e32 v28, v26, v32
	v_mul_f32_e32 v26, v26, v33
	v_fma_f32 v29, v27, v32, -v26
	v_accvgpr_write_b32 a45, v33
	ds_write_b64 v160, v[28:29] offset:1296
	v_accvgpr_write_b32 a44, v32
	global_load_dwordx2 v[26:27], v[24:25], off
	global_load_dwordx2 v[32:33], v160, s[4:5] offset:3240
	s_mov_b64 s[4:5], 0x288
	v_lshl_add_u64 v[204:205], v[56:57], 0, s[4:5]
	s_waitcnt vmcnt(0)
	v_mul_f32_e32 v28, v27, v33
	v_fmac_f32_e32 v28, v26, v32
	v_mul_f32_e32 v26, v26, v33
	v_fma_f32 v29, v27, v32, -v26
	v_add_u32_e32 v26, 0x800, v160
	ds_write2_b64 v26, v[22:23], v[28:29] offset0:68 offset1:149
	v_mad_u64_u32 v[22:23], s[4:5], s8, v30, v[24:25]
	v_add_u32_e32 v23, s2, v23
	global_load_dwordx2 v[24:25], v[22:23], off
	global_load_dwordx2 v[28:29], v[6:7], off offset:1088
	v_mov_b32_e32 v163, v26
	v_accvgpr_write_b32 a47, v33
	v_accvgpr_write_b32 a46, v32
	s_waitcnt vmcnt(0)
	v_mul_f32_e32 v26, v25, v29
	v_fmac_f32_e32 v26, v24, v28
	v_mul_f32_e32 v24, v24, v29
	v_fma_f32 v27, v25, v28, -v24
	v_add_u32_e32 v24, 0x1000, v160
	ds_write2_b64 v24, v[20:21], v[26:27] offset0:55 offset1:136
	v_mov_b32_e32 v124, v24
	v_mov_b32_e32 v24, 0x798
	v_mad_u64_u32 v[20:21], s[4:5], s8, v24, v[22:23]
	v_add_u32_e32 v21, s2, v21
	global_load_dwordx2 v[22:23], v[20:21], off
	global_load_dwordx2 v[26:27], v[6:7], off offset:3032
	v_accvgpr_write_b32 a51, v29
	v_accvgpr_write_b32 a50, v28
	s_waitcnt vmcnt(0)
	v_mul_f32_e32 v6, v23, v27
	v_mul_f32_e32 v7, v22, v27
	v_fmac_f32_e32 v6, v22, v26
	v_fma_f32 v7, v23, v26, -v7
	ds_write2_b64 v254, v[18:19], v[6:7] offset0:42 offset1:123
	v_mad_u64_u32 v[6:7], s[4:5], s8, v24, v[20:21]
	v_add_u32_e32 v7, s2, v7
	global_load_dwordx2 v[18:19], v[6:7], off
	global_load_dwordx2 v[24:25], v[4:5], off offset:880
	v_mov_b32_e32 v22, 0x798
	v_mad_u64_u32 v[6:7], s[4:5], s8, v22, v[6:7]
	v_add_u32_e32 v7, s2, v7
	v_accvgpr_write_b32 a49, v27
	v_accvgpr_write_b32 a48, v26
	s_waitcnt vmcnt(0)
	v_mul_f32_e32 v20, v19, v25
	v_fmac_f32_e32 v20, v18, v24
	v_mul_f32_e32 v18, v18, v25
	v_fma_f32 v21, v19, v24, -v18
	v_add_u32_e32 v18, 0x2000, v160
	ds_write2_b64 v18, v[16:17], v[20:21] offset0:29 offset1:110
	v_mov_b32_e32 v165, v18
	global_load_dwordx2 v[16:17], v[6:7], off
	global_load_dwordx2 v[18:19], v[4:5], off offset:2824
	v_accvgpr_write_b32 a53, v25
	v_accvgpr_write_b32 a52, v24
	s_waitcnt vmcnt(0)
	v_mul_f32_e32 v4, v17, v19
	v_mul_f32_e32 v5, v16, v19
	v_fmac_f32_e32 v4, v16, v18
	v_fma_f32 v5, v17, v18, -v5
	v_add_u32_e32 v16, 0x2800, v160
	ds_write2_b64 v16, v[14:15], v[4:5] offset0:16 offset1:97
	v_mad_u64_u32 v[4:5], s[4:5], s8, v22, v[6:7]
	v_add_u32_e32 v5, s2, v5
	v_mov_b32_e32 v252, v16
	global_load_dwordx2 v[6:7], v[4:5], off
	global_load_dwordx2 v[16:17], v[2:3], off offset:672
	v_accvgpr_write_b32 a55, v19
	v_accvgpr_write_b32 a54, v18
	s_waitcnt vmcnt(0)
	v_mul_f32_e32 v14, v7, v17
	v_fmac_f32_e32 v14, v6, v16
	v_mul_f32_e32 v6, v6, v17
	v_fma_f32 v15, v7, v16, -v6
	v_add_u32_e32 v6, 0x3000, v160
	ds_write2_b64 v6, v[12:13], v[14:15] offset0:3 offset1:84
	v_mov_b32_e32 v12, 0x798
	v_mad_u64_u32 v[4:5], s[4:5], s8, v12, v[4:5]
	v_add_u32_e32 v5, s2, v5
	v_mov_b32_e32 v125, v6
	global_load_dwordx2 v[6:7], v[4:5], off
	global_load_dwordx2 v[14:15], v[2:3], off offset:2616
	v_accvgpr_write_b32 a59, v17
	v_accvgpr_write_b32 a58, v16
	s_waitcnt vmcnt(0)
	v_mul_f32_e32 v2, v7, v15
	v_mul_f32_e32 v3, v6, v15
	v_fmac_f32_e32 v2, v6, v14
	v_fma_f32 v3, v7, v14, -v3
	v_add_u32_e32 v6, 0x3400, v160
	ds_write2_b64 v6, v[10:11], v[2:3] offset0:118 offset1:199
	v_mad_u64_u32 v[2:3], s[4:5], s8, v12, v[4:5]
	v_add_u32_e32 v3, s2, v3
	global_load_dwordx2 v[4:5], v[2:3], off
	global_load_dwordx2 v[10:11], v[200:201], off offset:464
	v_mov_b32_e32 v255, v6
	v_mov_b32_e32 v12, 0x798
	v_accvgpr_write_b32 a57, v15
	v_accvgpr_write_b32 a56, v14
	s_waitcnt vmcnt(0)
	v_mul_f32_e32 v6, v5, v11
	v_fmac_f32_e32 v6, v4, v10
	v_mul_f32_e32 v4, v4, v11
	v_fma_f32 v7, v5, v10, -v4
	v_add_u32_e32 v4, 0x3c00, v160
	ds_write2_b64 v4, v[8:9], v[6:7] offset0:105 offset1:186
	v_accvgpr_write_b32 a103, v4
	v_mad_u64_u32 v[4:5], s[4:5], s8, v12, v[2:3]
	v_add_u32_e32 v5, s2, v5
	global_load_dwordx2 v[2:3], v[4:5], off
	global_load_dwordx2 v[6:7], v[200:201], off offset:2408
	v_accvgpr_write_b32 a61, v11
	v_accvgpr_write_b32 a60, v10
	s_mov_b32 s4, 0x3f167918
	s_mov_b32 s8, 0x3e9e377a
	;; [unrolled: 1-line block ×5, first 2 shown]
	s_waitcnt vmcnt(0)
	v_mul_f32_e32 v4, v3, v7
	v_fmac_f32_e32 v4, v2, v6
	v_mul_f32_e32 v2, v2, v7
	v_fma_f32 v5, v3, v6, -v2
	v_add_u32_e32 v2, 0x4400, v160
	ds_write2_b64 v2, v[0:1], v[4:5] offset0:92 offset1:173
	v_mul_lo_u16_e32 v0, 10, v56
	v_lshlrev_b32_e32 v95, 3, v0
	v_mul_u32_u24_e32 v0, 10, v54
	v_lshlrev_b32_e32 v94, 3, v0
	v_add_u32_e32 v0, 0xc00, v160
	s_waitcnt lgkmcnt(0)
	s_barrier
	ds_read2_b64 v[24:27], v160 offset1:81
	ds_read2_b64 v[16:19], v163 offset0:68 offset1:149
	ds_read2_b64 v[28:31], v0 offset0:102 offset1:183
	v_mov_b32_e32 v251, v0
	v_add_u32_e32 v0, 0x1c00, v160
	ds_read2_b64 v[32:35], v0 offset0:76 offset1:157
	v_mov_b32_e32 v249, v0
	v_add_u32_e32 v0, 0x2c00, v160
	v_accvgpr_write_b32 a63, v7
	ds_read2_b64 v[36:39], v0 offset0:50 offset1:131
	v_accvgpr_write_b32 a62, v6
	v_mov_b32_e32 v20, v2
	ds_read2_b64 v[4:7], v254 offset0:42 offset1:123
	ds_read2_b64 v[8:11], v252 offset0:16 offset1:97
	v_mov_b32_e32 v248, v0
	ds_read2_b64 v[0:3], v255 offset0:118 offset1:199
	ds_read2_b64 v[40:43], v127 offset0:152 offset1:233
	;; [unrolled: 1-line block ×3, first 2 shown]
	v_mov_b32_e32 v253, v20
	s_waitcnt lgkmcnt(7)
	v_pk_add_f32 v[20:21], v[26:27], v[30:31]
	s_waitcnt lgkmcnt(5)
	v_pk_add_f32 v[22:23], v[34:35], v[38:39]
	s_waitcnt lgkmcnt(1)
	v_pk_add_f32 v[44:45], v[30:31], v[42:43] neg_lo:[0,1] neg_hi:[0,1]
	v_pk_add_f32 v[20:21], v[20:21], v[34:35]
	v_pk_fma_f32 v[22:23], v[22:23], 0.5, v[26:27] op_sel_hi:[1,0,1] neg_lo:[1,0,0] neg_hi:[1,0,0]
	v_pk_mul_f32 v[50:51], v[44:45], s[10:11] op_sel_hi:[1,0]
	v_pk_add_f32 v[52:53], v[34:35], v[38:39] neg_lo:[0,1] neg_hi:[0,1]
	v_pk_add_f32 v[62:63], v[30:31], v[34:35] neg_lo:[0,1] neg_hi:[0,1]
	;; [unrolled: 1-line block ×3, first 2 shown]
	v_pk_add_f32 v[20:21], v[20:21], v[38:39]
	v_pk_mul_f32 v[60:61], v[52:53], s[4:5] op_sel_hi:[1,0]
	v_pk_add_f32 v[62:63], v[62:63], v[64:65]
	v_pk_add_f32 v[64:65], v[22:23], v[50:51] op_sel:[0,1] op_sel_hi:[1,0]
	v_pk_add_f32 v[46:47], v[20:21], v[42:43]
	v_pk_add_f32 v[22:23], v[22:23], v[50:51] op_sel:[0,1] op_sel_hi:[1,0] neg_lo:[0,1] neg_hi:[0,1]
	v_pk_add_f32 v[50:51], v[64:65], v[60:61] op_sel:[0,1] op_sel_hi:[1,0]
	v_pk_add_f32 v[64:65], v[30:31], v[42:43]
	v_pk_add_f32 v[30:31], v[34:35], v[30:31] neg_lo:[0,1] neg_hi:[0,1]
	v_pk_add_f32 v[34:35], v[38:39], v[42:43] neg_lo:[0,1] neg_hi:[0,1]
	;; [unrolled: 1-line block ×3, first 2 shown]
	s_waitcnt lgkmcnt(0)
	v_pk_add_f32 v[42:43], v[4:5], v[12:13]
	v_pk_fma_f32 v[26:27], v[64:65], 0.5, v[26:27] op_sel_hi:[1,0,1] neg_lo:[1,0,0] neg_hi:[1,0,0]
	v_pk_add_f32 v[30:31], v[30:31], v[34:35]
	v_pk_add_f32 v[34:35], v[4:5], v[12:13] neg_lo:[0,1] neg_hi:[0,1]
	v_pk_fma_f32 v[42:43], v[42:43], 0.5, v[16:17] op_sel_hi:[1,0,1] neg_lo:[1,0,0] neg_hi:[1,0,0]
	v_pk_mul_f32 v[64:65], v[38:39], s[10:11] op_sel_hi:[1,0]
	v_pk_add_f32 v[68:69], v[8:9], v[4:5] neg_lo:[0,1] neg_hi:[0,1]
	v_pk_add_f32 v[70:71], v[0:1], v[12:13] neg_lo:[0,1] neg_hi:[0,1]
	v_pk_mul_f32 v[66:67], v[34:35], s[4:5] op_sel_hi:[1,0]
	v_pk_add_f32 v[68:69], v[68:69], v[70:71]
	v_pk_add_f32 v[70:71], v[42:43], v[64:65] op_sel:[0,1] op_sel_hi:[1,0] neg_lo:[0,1] neg_hi:[0,1]
	v_pk_add_f32 v[42:43], v[42:43], v[64:65] op_sel:[0,1] op_sel_hi:[1,0]
	v_pk_mul_f32 v[44:45], v[44:45], s[4:5] op_sel_hi:[1,0]
	v_pk_add_f32 v[64:65], v[42:43], v[66:67] op_sel:[0,1] op_sel_hi:[1,0] neg_lo:[0,1] neg_hi:[0,1]
	v_pk_add_f32 v[66:67], v[70:71], v[66:67] op_sel:[0,1] op_sel_hi:[1,0]
	v_mov_b32_e32 v43, v65
	v_mov_b32_e32 v42, v66
	v_pk_fma_f32 v[42:43], v[68:69], s[8:9], v[42:43] op_sel_hi:[1,0,1]
	v_pk_add_f32 v[20:21], v[16:17], v[4:5]
	v_pk_mul_f32 v[70:71], v[42:43], s[10:11] op_sel_hi:[1,0]
	v_pk_add_f32 v[20:21], v[20:21], v[8:9]
	v_pk_fma_f32 v[72:73], v[42:43], s[8:9], v[70:71] op_sel:[0,0,1] op_sel_hi:[1,0,0]
	v_pk_fma_f32 v[42:43], v[42:43], s[8:9], v[70:71] op_sel:[0,0,1] op_sel_hi:[1,0,0] neg_lo:[0,0,1] neg_hi:[0,0,1]
	v_pk_add_f32 v[22:23], v[22:23], v[60:61] op_sel:[0,1] op_sel_hi:[1,0] neg_lo:[0,1] neg_hi:[0,1]
	v_mov_b32_e32 v73, v43
	v_pk_mul_f32 v[42:43], v[52:53], s[10:11] op_sel_hi:[1,0]
	v_pk_add_f32 v[20:21], v[20:21], v[0:1]
	v_pk_add_f32 v[52:53], v[26:27], v[42:43] op_sel:[0,1] op_sel_hi:[1,0] neg_lo:[0,1] neg_hi:[0,1]
	v_pk_add_f32 v[26:27], v[26:27], v[42:43] op_sel:[0,1] op_sel_hi:[1,0]
	v_mov_b32_e32 v61, v23
	v_pk_add_f32 v[26:27], v[26:27], v[44:45] op_sel:[0,1] op_sel_hi:[1,0] neg_lo:[0,1] neg_hi:[0,1]
	v_pk_add_f32 v[44:45], v[52:53], v[44:45] op_sel:[0,1] op_sel_hi:[1,0]
	v_mov_b32_e32 v43, v27
	v_mov_b32_e32 v42, v44
	;; [unrolled: 1-line block ×3, first 2 shown]
	v_pk_fma_f32 v[52:53], v[30:31], s[8:9], v[42:43] op_sel_hi:[1,0,1]
	v_pk_fma_f32 v[30:31], v[30:31], s[8:9], v[26:27] op_sel_hi:[1,0,1]
	v_pk_add_f32 v[26:27], v[8:9], v[0:1]
	v_pk_add_f32 v[4:5], v[4:5], v[8:9] neg_lo:[0,1] neg_hi:[0,1]
	v_pk_fma_f32 v[16:17], v[26:27], 0.5, v[16:17] op_sel_hi:[1,0,1] neg_lo:[1,0,0] neg_hi:[1,0,0]
	v_pk_add_f32 v[0:1], v[12:13], v[0:1] neg_lo:[0,1] neg_hi:[0,1]
	v_mov_b32_e32 v23, v51
	v_pk_mul_f32 v[8:9], v[34:35], s[10:11] op_sel_hi:[1,0]
	v_pk_add_f32 v[48:49], v[20:21], v[12:13]
	v_pk_add_f32 v[0:1], v[4:5], v[0:1]
	v_pk_fma_f32 v[4:5], v[62:63], s[8:9], v[22:23] op_sel_hi:[1,0,1]
	v_pk_add_f32 v[12:13], v[16:17], v[8:9] op_sel:[0,1] op_sel_hi:[1,0]
	v_pk_mul_f32 v[22:23], v[38:39], s[4:5] op_sel_hi:[1,0]
	v_pk_add_f32 v[8:9], v[16:17], v[8:9] op_sel:[0,1] op_sel_hi:[1,0] neg_lo:[0,1] neg_hi:[0,1]
	v_pk_add_f32 v[12:13], v[22:23], v[12:13] op_sel:[1,0] op_sel_hi:[0,1]
	v_pk_add_f32 v[8:9], v[8:9], v[22:23] op_sel:[0,1] op_sel_hi:[1,0] neg_lo:[0,1] neg_hi:[0,1]
	v_pk_fma_f32 v[26:27], v[0:1], s[8:9], v[12:13] op_sel_hi:[1,0,1]
	v_pk_fma_f32 v[16:17], v[0:1], s[8:9], v[8:9] op_sel_hi:[1,0,1]
	v_mov_b32_e32 v9, v13
	v_pk_fma_f32 v[0:1], v[0:1], s[8:9], v[8:9] op_sel_hi:[1,0,1]
	s_mov_b32 s5, s16
	v_pk_mul_f32 v[8:9], v[0:1], s[16:17] op_sel_hi:[1,0]
	s_mov_b32 s17, s4
	v_pk_fma_f32 v[0:1], v[0:1], s[2:3], v[8:9] op_sel:[0,0,1] op_sel_hi:[1,1,0] neg_lo:[0,0,1] neg_hi:[0,0,1]
	v_pk_mul_f32 v[8:9], v[26:27], s[16:17] op_sel_hi:[0,1]
	v_mov_b32_e32 v60, v50
	v_mov_b32_e32 v65, v67
	v_pk_fma_f32 v[12:13], v[16:17], s[4:5], v[8:9] op_sel:[1,0,0]
	v_pk_fma_f32 v[8:9], v[16:17], s[4:5], v[8:9] op_sel:[1,0,0] neg_lo:[0,0,1] neg_hi:[0,0,1]
	v_pk_fma_f32 v[60:61], v[62:63], s[8:9], v[60:61] op_sel_hi:[1,0,1]
	v_pk_fma_f32 v[64:65], v[68:69], s[8:9], v[64:65] op_sel_hi:[1,0,1]
	v_mov_b32_e32 v13, v9
	v_pk_mul_f32 v[66:67], v[64:65], s[8:9] op_sel_hi:[1,0]
	v_pk_add_f32 v[22:23], v[60:61], v[12:13]
	v_pk_add_f32 v[16:17], v[4:5], v[0:1] op_sel:[1,0] op_sel_hi:[0,1]
	v_pk_add_f32 v[60:61], v[60:61], v[12:13] neg_lo:[0,1] neg_hi:[0,1]
	v_pk_add_f32 v[12:13], v[4:5], v[0:1] op_sel:[1,0] op_sel_hi:[0,1] neg_lo:[0,1] neg_hi:[0,1]
	v_mul_u32_u24_e32 v0, 10, v126
	v_pk_fma_f32 v[64:65], v[64:65], s[18:19], v[66:67] op_sel:[0,0,1] op_sel_hi:[1,1,0] neg_lo:[0,0,1] neg_hi:[0,0,1]
	v_lshlrev_b32_e32 v93, 3, v0
	v_add_u32_e32 v0, 0x4000, v160
	v_pk_add_f32 v[20:21], v[46:47], v[48:49]
	v_pk_add_f32 v[42:43], v[52:53], v[72:73]
	v_pk_add_f32 v[44:45], v[30:31], v[64:65] op_sel:[0,1] op_sel_hi:[1,0]
	v_pk_add_f32 v[26:27], v[46:47], v[48:49] neg_lo:[0,1] neg_hi:[0,1]
	v_pk_add_f32 v[62:63], v[52:53], v[72:73] neg_lo:[0,1] neg_hi:[0,1]
	v_pk_add_f32 v[30:31], v[30:31], v[64:65] op_sel:[0,1] op_sel_hi:[1,0] neg_lo:[0,1] neg_hi:[0,1]
	ds_read2_b64 v[46:49], v160 offset0:162 offset1:243
	ds_read2_b64 v[50:53], v124 offset0:136 offset1:217
	;; [unrolled: 1-line block ×5, first 2 shown]
	v_pk_add_f32 v[34:35], v[28:29], v[40:41]
	s_waitcnt lgkmcnt(3)
	v_mov_b32_e32 v82, v52
	s_waitcnt lgkmcnt(2)
	v_mov_b32_e32 v84, v66
	;; [unrolled: 2-line block ×4, first 2 shown]
	v_fma_f32 v90, -0.5, v34, v24
	v_fma_f32 v91, -0.5, v35, v25
	v_pk_add_f32 v[34:35], v[66:67], v[70:71]
	v_pk_add_f32 v[82:83], v[82:83], v[84:85] neg_lo:[0,1] neg_hi:[0,1]
	v_fma_f32 v86, -0.5, v34, v48
	v_mov_b32_e32 v34, v83
	v_pk_add_f32 v[80:81], v[66:67], v[70:71] neg_lo:[0,1] neg_hi:[0,1]
	v_pk_add_f32 v[82:83], v[82:83], v[34:35]
	v_pk_add_f32 v[78:79], v[52:53], v[74:75] neg_lo:[0,1] neg_hi:[0,1]
	v_mov_b32_e32 v83, v81
	s_mov_b32 s9, s4
	v_fmamk_f32 v87, v79, 0x3f737871, v86
	v_pk_mul_f32 v[82:83], v[82:83], s[8:9]
	v_fmac_f32_e32 v86, 0xbf737871, v79
	v_add_f32_e32 v34, v83, v87
	v_add_f32_e32 v84, v82, v34
	v_sub_f32_e32 v34, v86, v83
	v_pk_add_f32 v[86:87], v[66:67], v[52:53] neg_lo:[0,1] neg_hi:[0,1]
	v_pk_add_f32 v[88:89], v[70:71], v[74:75] neg_lo:[0,1] neg_hi:[0,1]
	v_add_f32_e32 v85, v82, v34
	v_pk_add_f32 v[86:87], v[86:87], v[88:89]
	v_pk_add_f32 v[88:89], v[48:49], v[52:53]
	;; [unrolled: 1-line block ×4, first 2 shown]
	v_fma_f32 v52, -0.5, v35, v49
	v_pk_add_f32 v[88:89], v[88:89], v[70:71]
	v_mov_b32_e32 v70, v67
	v_pk_add_f32 v[88:89], v[88:89], v[74:75]
	v_mov_b32_e32 v74, v53
	v_pk_add_f32 v[34:35], v[74:75], v[70:71] neg_lo:[0,1] neg_hi:[0,1]
	v_fma_f32 v82, -0.5, v82, v48
	v_mov_b32_e32 v48, v35
	v_pk_add_f32 v[34:35], v[34:35], v[48:49]
	v_fmamk_f32 v92, v81, 0xbf737871, v82
	v_mov_b32_e32 v35, v80
	v_fma_f32 v49, -0.5, v83, v49
	v_fmac_f32_e32 v92, 0x3f167918, v79
	v_fmac_f32_e32 v82, 0x3f737871, v81
	v_fmamk_f32 v66, v78, 0xbf737871, v52
	v_pk_mul_f32 v[34:35], v[34:35], s[8:9]
	v_fmac_f32_e32 v52, 0x3f737871, v78
	v_fmamk_f32 v53, v80, 0x3f737871, v49
	v_fmac_f32_e32 v92, 0x3e9e377a, v86
	v_fmac_f32_e32 v82, 0xbf167918, v79
	v_sub_f32_e32 v48, v66, v35
	v_add_f32_e32 v35, v35, v52
	v_fmac_f32_e32 v53, 0xbf167918, v78
	v_fmac_f32_e32 v49, 0xbf737871, v80
	;; [unrolled: 1-line block ×3, first 2 shown]
	v_add_f32_e32 v52, v34, v35
	v_fmac_f32_e32 v53, 0x3e9e377a, v87
	v_fmac_f32_e32 v49, 0x3f167918, v78
	v_mul_f32_e32 v83, 0xbf4f1bbd, v85
	v_mul_f32_e32 v86, 0xbf737871, v92
	v_pk_add_f32 v[38:39], v[32:33], v[28:29] neg_lo:[0,1] neg_hi:[0,1]
	v_pk_add_f32 v[76:77], v[36:37], v[40:41] neg_lo:[0,1] neg_hi:[0,1]
	v_fmac_f32_e32 v49, 0x3e9e377a, v87
	v_mul_f32_e32 v80, 0x3f737871, v53
	v_fmac_f32_e32 v83, 0x3f167918, v52
	v_fmac_f32_e32 v86, 0x3e9e377a, v53
	v_mul_f32_e32 v87, 0xbf4f1bbd, v52
	v_pk_add_f32 v[52:53], v[32:33], v[36:37]
	v_pk_add_f32 v[38:39], v[38:39], v[76:77]
	;; [unrolled: 1-line block ×3, first 2 shown]
	v_pk_fma_f32 v[24:25], v[52:53], 0.5, v[24:25] op_sel_hi:[1,0,1] neg_lo:[1,0,0] neg_hi:[1,0,0]
	v_pk_add_f32 v[52:53], v[28:29], v[40:41] neg_lo:[0,1] neg_hi:[0,1]
	v_pk_add_f32 v[76:77], v[76:77], v[32:33]
	v_pk_mul_f32 v[66:67], v[52:53], s[10:11] op_sel_hi:[1,0]
	v_pk_add_f32 v[74:75], v[32:33], v[36:37] neg_lo:[0,1] neg_hi:[0,1]
	v_pk_add_f32 v[28:29], v[28:29], v[32:33] neg_lo:[0,1] neg_hi:[0,1]
	;; [unrolled: 1-line block ×3, first 2 shown]
	v_mul_f32_e32 v81, 0xbe9e377a, v82
	v_pk_add_f32 v[70:71], v[24:25], v[66:67] op_sel:[0,1] op_sel_hi:[1,0] neg_lo:[0,1] neg_hi:[0,1]
	v_pk_mul_f32 v[78:79], v[74:75], s[4:5] op_sel_hi:[1,0]
	v_pk_add_f32 v[28:29], v[28:29], v[32:33]
	v_fmac_f32_e32 v81, 0x3f737871, v49
	v_mul_f32_e32 v49, 0xbe9e377a, v49
	v_pk_add_f32 v[70:71], v[70:71], v[78:79] op_sel:[0,1] op_sel_hi:[1,0] neg_lo:[0,1] neg_hi:[0,1]
	v_pk_mul_f32 v[32:33], v[28:29], s[8:9] op_sel_hi:[1,0]
	v_pk_add_f32 v[24:25], v[24:25], v[66:67] op_sel:[0,1] op_sel_hi:[1,0]
	v_fmac_f32_e32 v49, 0xbf737871, v82
	v_fmac_f32_e32 v87, 0xbf167918, v85
	v_add_f32_e32 v85, v32, v70
	v_fmamk_f32 v82, v75, 0xbf737871, v90
	v_fmac_f32_e32 v90, 0x3f737871, v75
	v_pk_add_f32 v[24:25], v[78:79], v[24:25] op_sel:[1,0] op_sel_hi:[0,1]
	v_add_f32_e32 v48, v34, v48
	v_fmac_f32_e32 v82, 0x3f167918, v53
	v_fmac_f32_e32 v90, 0xbf167918, v53
	v_mov_b32_e32 v70, v24
	v_add_f32_e32 v53, v33, v25
	v_pk_mul_f32 v[24:25], v[84:85], s[16:17] op_sel_hi:[0,1]
	v_pk_add_f32 v[76:77], v[76:77], v[36:37]
	v_fmamk_f32 v66, v74, 0x3f737871, v91
	v_fmac_f32_e32 v91, 0xbf737871, v74
	v_pk_fma_f32 v[32:33], v[48:49], s[4:5], v[24:25]
	v_pk_fma_f32 v[24:25], v[48:49], s[4:5], v[24:25] op_sel_hi:[0,1,1] neg_lo:[0,0,1] neg_hi:[0,0,1]
	v_pk_add_f32 v[76:77], v[76:77], v[40:41]
	v_pk_fma_f32 v[28:29], v[28:29], s[8:9], v[70:71] op_sel_hi:[1,0,1]
	v_fmac_f32_e32 v66, 0xbf167918, v52
	v_fmac_f32_e32 v91, 0x3f167918, v52
	v_mov_b32_e32 v33, v25
	v_fmac_f32_e32 v80, 0x3e9e377a, v92
	v_pk_add_f32 v[34:35], v[76:77], v[88:89]
	v_fmac_f32_e32 v82, 0x3e9e377a, v38
	v_fmac_f32_e32 v90, 0x3e9e377a, v38
	;; [unrolled: 1-line block ×4, first 2 shown]
	v_pk_add_f32 v[36:37], v[28:29], v[32:33]
	v_mov_b32_e32 v24, v17
	v_mov_b32_e32 v25, v16
	v_pk_add_f32 v[76:77], v[76:77], v[88:89] neg_lo:[0,1] neg_hi:[0,1]
	s_barrier
	v_add_f32_e32 v38, v82, v80
	v_add_f32_e32 v40, v90, v81
	;; [unrolled: 1-line block ×6, first 2 shown]
	v_pk_add_f32 v[78:79], v[28:29], v[32:33] neg_lo:[0,1] neg_hi:[0,1]
	v_sub_f32_e32 v80, v82, v80
	v_sub_f32_e32 v82, v90, v81
	;; [unrolled: 1-line block ×6, first 2 shown]
	ds_write_b128 v95, v[34:37]
	ds_write_b128 v95, v[38:41] offset:16
	ds_write_b128 v95, v[74:77] offset:32
	;; [unrolled: 1-line block ×5, first 2 shown]
	ds_write_b128 v94, v[20:23]
	ds_write_b128 v94, v[24:27] offset:32
	ds_write_b128 v94, v[60:63] offset:48
	v_mov_b32_e32 v32, v13
	v_mov_b32_e32 v33, v12
	v_pk_add_f32 v[12:13], v[64:65], v[68:69]
	v_pk_add_f32 v[26:27], v[50:51], v[72:73] neg_lo:[0,1] neg_hi:[0,1]
	v_pk_fma_f32 v[12:13], v[12:13], 0.5, v[46:47] op_sel_hi:[1,0,1] neg_lo:[1,0,0] neg_hi:[1,0,0]
	v_pk_mul_f32 v[20:21], v[26:27], s[10:11] op_sel_hi:[1,0]
	v_pk_add_f32 v[28:29], v[64:65], v[68:69] neg_lo:[0,1] neg_hi:[0,1]
	v_pk_add_f32 v[16:17], v[50:51], v[64:65] neg_lo:[0,1] neg_hi:[0,1]
	;; [unrolled: 1-line block ×3, first 2 shown]
	v_pk_mul_f32 v[22:23], v[28:29], s[4:5] op_sel_hi:[1,0]
	v_pk_add_f32 v[16:17], v[16:17], v[24:25]
	v_pk_add_f32 v[24:25], v[12:13], v[20:21] op_sel:[0,1] op_sel_hi:[1,0]
	v_pk_add_f32 v[12:13], v[12:13], v[20:21] op_sel:[0,1] op_sel_hi:[1,0] neg_lo:[0,1] neg_hi:[0,1]
	ds_write_b128 v94, v[30:33] offset:64
	v_pk_add_f32 v[20:21], v[12:13], v[22:23] op_sel:[0,1] op_sel_hi:[1,0] neg_lo:[0,1] neg_hi:[0,1]
	v_pk_add_f32 v[22:23], v[24:25], v[22:23] op_sel:[0,1] op_sel_hi:[1,0]
	v_pk_add_f32 v[24:25], v[50:51], v[72:73]
	v_pk_add_f32 v[32:33], v[68:69], v[72:73] neg_lo:[0,1] neg_hi:[0,1]
	v_pk_fma_f32 v[30:31], v[24:25], 0.5, v[46:47] op_sel_hi:[1,0,1] neg_lo:[1,0,0] neg_hi:[1,0,0]
	v_pk_add_f32 v[24:25], v[64:65], v[50:51] neg_lo:[0,1] neg_hi:[0,1]
	v_pk_add_f32 v[34:35], v[6:7], v[14:15] neg_lo:[0,1] neg_hi:[0,1]
	v_pk_add_f32 v[36:37], v[24:25], v[32:33]
	v_pk_add_f32 v[32:33], v[10:11], v[2:3] neg_lo:[0,1] neg_hi:[0,1]
	v_pk_add_f32 v[24:25], v[6:7], v[14:15]
	v_pk_mul_f32 v[38:39], v[32:33], s[10:11] op_sel_hi:[1,0]
	v_pk_fma_f32 v[24:25], v[24:25], 0.5, v[18:19] op_sel_hi:[1,0,1] neg_lo:[1,0,0] neg_hi:[1,0,0]
	v_pk_add_f32 v[42:43], v[10:11], v[6:7] neg_lo:[0,1] neg_hi:[0,1]
	v_pk_add_f32 v[44:45], v[2:3], v[14:15] neg_lo:[0,1] neg_hi:[0,1]
	v_pk_mul_f32 v[40:41], v[34:35], s[4:5] op_sel_hi:[1,0]
	v_pk_add_f32 v[42:43], v[42:43], v[44:45]
	v_pk_add_f32 v[44:45], v[24:25], v[38:39] op_sel:[0,1] op_sel_hi:[1,0] neg_lo:[0,1] neg_hi:[0,1]
	v_pk_add_f32 v[24:25], v[24:25], v[38:39] op_sel:[0,1] op_sel_hi:[1,0]
	v_mov_b32_e32 v250, v0
	v_pk_add_f32 v[0:1], v[46:47], v[50:51]
	v_pk_add_f32 v[46:47], v[24:25], v[40:41] op_sel:[0,1] op_sel_hi:[1,0] neg_lo:[0,1] neg_hi:[0,1]
	v_pk_add_f32 v[40:41], v[44:45], v[40:41] op_sel:[0,1] op_sel_hi:[1,0]
	v_mov_b32_e32 v25, v47
	v_mov_b32_e32 v24, v40
	v_pk_fma_f32 v[38:39], v[42:43], s[8:9], v[24:25] op_sel_hi:[1,0,1]
	v_pk_mul_f32 v[28:29], v[28:29], s[10:11] op_sel_hi:[1,0]
	v_pk_mul_f32 v[44:45], v[38:39], s[10:11] op_sel_hi:[1,0]
	v_pk_add_f32 v[0:1], v[0:1], v[64:65]
	v_pk_fma_f32 v[24:25], v[38:39], s[8:9], v[44:45] op_sel:[0,0,1] op_sel_hi:[1,0,0]
	v_pk_fma_f32 v[38:39], v[38:39], s[8:9], v[44:45] op_sel:[0,0,1] op_sel_hi:[1,0,0] neg_lo:[0,0,1] neg_hi:[0,0,1]
	v_pk_mul_f32 v[26:27], v[26:27], s[4:5] op_sel_hi:[1,0]
	v_mov_b32_e32 v25, v39
	v_pk_add_f32 v[38:39], v[30:31], v[28:29] op_sel:[0,1] op_sel_hi:[1,0] neg_lo:[0,1] neg_hi:[0,1]
	v_pk_add_f32 v[28:29], v[30:31], v[28:29] op_sel:[0,1] op_sel_hi:[1,0]
	v_pk_add_f32 v[0:1], v[0:1], v[68:69]
	v_pk_add_f32 v[28:29], v[28:29], v[26:27] op_sel:[0,1] op_sel_hi:[1,0] neg_lo:[0,1] neg_hi:[0,1]
	v_pk_add_f32 v[44:45], v[38:39], v[26:27] op_sel:[0,1] op_sel_hi:[1,0]
	v_pk_add_f32 v[4:5], v[0:1], v[72:73]
	v_pk_add_f32 v[0:1], v[18:19], v[6:7]
	v_mov_b32_e32 v26, v44
	v_mov_b32_e32 v27, v29
	;; [unrolled: 1-line block ×3, first 2 shown]
	v_pk_add_f32 v[0:1], v[0:1], v[10:11]
	v_pk_fma_f32 v[30:31], v[36:37], s[8:9], v[26:27] op_sel_hi:[1,0,1]
	v_pk_fma_f32 v[28:29], v[36:37], s[8:9], v[28:29] op_sel_hi:[1,0,1]
	v_pk_add_f32 v[36:37], v[10:11], v[2:3]
	v_pk_add_f32 v[0:1], v[0:1], v[2:3]
	v_mov_b32_e32 v12, v22
	v_mov_b32_e32 v13, v21
	v_pk_fma_f32 v[18:19], v[36:37], 0.5, v[18:19] op_sel_hi:[1,0,1] neg_lo:[1,0,0] neg_hi:[1,0,0]
	v_pk_add_f32 v[6:7], v[6:7], v[10:11] neg_lo:[0,1] neg_hi:[0,1]
	v_pk_add_f32 v[2:3], v[14:15], v[2:3] neg_lo:[0,1] neg_hi:[0,1]
	v_mov_b32_e32 v21, v23
	v_pk_mul_f32 v[10:11], v[34:35], s[10:11] op_sel_hi:[1,0]
	v_pk_add_f32 v[8:9], v[0:1], v[14:15]
	v_pk_fma_f32 v[12:13], v[16:17], s[8:9], v[12:13] op_sel_hi:[1,0,1]
	v_pk_add_f32 v[2:3], v[6:7], v[2:3]
	v_pk_fma_f32 v[6:7], v[16:17], s[8:9], v[20:21] op_sel_hi:[1,0,1]
	v_pk_add_f32 v[14:15], v[18:19], v[10:11] op_sel:[0,1] op_sel_hi:[1,0]
	v_pk_mul_f32 v[16:17], v[32:33], s[4:5] op_sel_hi:[1,0]
	v_pk_add_f32 v[10:11], v[18:19], v[10:11] op_sel:[0,1] op_sel_hi:[1,0] neg_lo:[0,1] neg_hi:[0,1]
	v_pk_add_f32 v[14:15], v[16:17], v[14:15] op_sel:[1,0] op_sel_hi:[0,1]
	v_pk_add_f32 v[10:11], v[10:11], v[16:17] op_sel:[0,1] op_sel_hi:[1,0] neg_lo:[0,1] neg_hi:[0,1]
	v_pk_fma_f32 v[20:21], v[2:3], s[8:9], v[14:15] op_sel_hi:[1,0,1]
	v_pk_fma_f32 v[16:17], v[2:3], s[8:9], v[10:11] op_sel_hi:[1,0,1]
	v_mov_b32_e32 v11, v15
	v_pk_fma_f32 v[2:3], v[2:3], s[8:9], v[10:11] op_sel_hi:[1,0,1]
	v_mov_b32_e32 v47, v41
	v_pk_mul_f32 v[10:11], v[2:3], s[16:17] op_sel_hi:[1,0]
	v_pk_add_f32 v[0:1], v[4:5], v[8:9]
	v_pk_fma_f32 v[10:11], v[2:3], s[2:3], v[10:11] op_sel:[0,0,1] op_sel_hi:[1,1,0] neg_lo:[0,0,1] neg_hi:[0,0,1]
	v_pk_mul_f32 v[2:3], v[20:21], s[16:17] op_sel_hi:[0,1]
	v_pk_fma_f32 v[14:15], v[16:17], s[4:5], v[2:3] op_sel:[1,0,0]
	v_pk_fma_f32 v[2:3], v[16:17], s[4:5], v[2:3] op_sel:[1,0,0] neg_lo:[0,0,1] neg_hi:[0,0,1]
	v_pk_fma_f32 v[26:27], v[42:43], s[8:9], v[46:47] op_sel_hi:[1,0,1]
	v_mov_b32_e32 v15, v3
	v_pk_add_f32 v[2:3], v[12:13], v[14:15]
	v_pk_add_f32 v[16:17], v[6:7], v[10:11] op_sel:[1,0] op_sel_hi:[0,1]
	v_pk_mul_f32 v[40:41], v[26:27], s[8:9] op_sel_hi:[1,0]
	ds_write_b128 v93, v[0:3]
	v_pk_add_f32 v[2:3], v[4:5], v[8:9] neg_lo:[0,1] neg_hi:[0,1]
	v_mov_b32_e32 v0, v17
	v_mov_b32_e32 v1, v16
	v_pk_fma_f32 v[26:27], v[26:27], s[18:19], v[40:41] op_sel:[0,0,1] op_sel_hi:[1,1,0] neg_lo:[0,0,1] neg_hi:[0,0,1]
	ds_write_b128 v93, v[0:3] offset:32
	v_pk_add_f32 v[0:1], v[12:13], v[14:15] neg_lo:[0,1] neg_hi:[0,1]
	v_pk_add_f32 v[2:3], v[30:31], v[24:25] neg_lo:[0,1] neg_hi:[0,1]
	v_pk_add_f32 v[4:5], v[6:7], v[10:11] op_sel:[1,0] op_sel_hi:[0,1] neg_lo:[0,1] neg_hi:[0,1]
	ds_write_b128 v93, v[0:3] offset:48
	v_pk_add_f32 v[0:1], v[28:29], v[26:27] op_sel:[0,1] op_sel_hi:[1,0] neg_lo:[0,1] neg_hi:[0,1]
	v_mov_b32_e32 v2, v5
	v_mov_b32_e32 v3, v4
	s_movk_i32 s2, 0xcd
	ds_write_b128 v93, v[0:3] offset:64
	v_mul_lo_u16_sdwa v0, v56, s2 dst_sel:DWORD dst_unused:UNUSED_PAD src0_sel:BYTE_0 src1_sel:DWORD
	v_lshrrev_b16_e32 v0, 11, v0
	v_mul_lo_u16_e32 v1, 10, v0
	v_sub_u16_e32 v1, v56, v1
	v_and_b32_e32 v1, 0xff, v1
	v_pk_add_f32 v[38:39], v[30:31], v[24:25]
	v_pk_add_f32 v[40:41], v[28:29], v[26:27] op_sel:[0,1] op_sel_hi:[1,0]
	v_lshlrev_b32_e32 v2, 4, v1
	ds_write_b128 v93, v[38:41] offset:16
	s_waitcnt lgkmcnt(0)
	s_barrier
	global_load_dwordx4 v[108:111], v2, s[6:7]
	v_mul_lo_u16_sdwa v2, v54, s2 dst_sel:DWORD dst_unused:UNUSED_PAD src0_sel:BYTE_0 src1_sel:DWORD
	v_lshrrev_b16_e32 v2, 11, v2
	v_mul_lo_u16_e32 v3, 10, v2
	v_sub_u16_e32 v3, v54, v3
	v_and_b32_e32 v3, 0xff, v3
	v_lshlrev_b32_e32 v4, 4, v3
	global_load_dwordx4 v[114:117], v4, s[6:7]
	v_mul_lo_u16_sdwa v4, v126, s2 dst_sel:DWORD dst_unused:UNUSED_PAD src0_sel:BYTE_0 src1_sel:DWORD
	v_lshrrev_b16_e32 v4, 11, v4
	v_mul_lo_u16_e32 v5, 10, v4
	v_sub_u16_e32 v5, v126, v5
	v_and_b32_e32 v5, 0xff, v5
	v_lshlrev_b32_e32 v6, 4, v5
	s_mov_b32 s2, 0xcccd
	v_accvgpr_write_b32 a73, v95
	v_accvgpr_write_b32 a68, v94
	;; [unrolled: 1-line block ×3, first 2 shown]
	global_load_dwordx4 v[92:95], v6, s[6:7]
	v_mul_u32_u24_sdwa v6, v58, s2 dst_sel:DWORD dst_unused:UNUSED_PAD src0_sel:WORD_0 src1_sel:DWORD
	v_lshrrev_b32_e32 v6, 19, v6
	v_mul_lo_u16_e32 v7, 10, v6
	v_sub_u16_e32 v7, v58, v7
	v_lshlrev_b16_e32 v8, 1, v7
	v_lshlrev_b32_e32 v8, 3, v8
	global_load_dwordx4 v[96:99], v8, s[6:7]
	v_mul_u32_u24_sdwa v8, v166, s2 dst_sel:DWORD dst_unused:UNUSED_PAD src0_sel:WORD_0 src1_sel:DWORD
	v_lshrrev_b32_e32 v8, 19, v8
	v_mul_lo_u16_e32 v9, 10, v8
	v_sub_u16_e32 v9, v166, v9
	v_lshlrev_b16_e32 v10, 1, v9
	v_lshlrev_b32_e32 v10, 3, v10
	;; [unrolled: 7-line block ×7, first 2 shown]
	global_load_dwordx4 v[36:39], v20, s[6:7]
	v_mul_u32_u24_e32 v0, 30, v0
	v_add_lshl_u32 v123, v0, v1, 3
	v_mul_u32_u24_e32 v0, 30, v2
	v_add_lshl_u32 v122, v0, v3, 3
	;; [unrolled: 2-line block ×3, first 2 shown]
	v_mad_legacy_u16 v0, v6, 30, v7
	v_lshlrev_b32_e32 v120, 3, v0
	v_mad_legacy_u16 v0, v8, 30, v9
	v_lshlrev_b32_e32 v119, 3, v0
	;; [unrolled: 2-line block ×7, first 2 shown]
	ds_read2_b64 v[40:43], v124 offset0:136 offset1:217
	ds_read2_b64 v[0:3], v248 offset0:50 offset1:131
	;; [unrolled: 1-line block ×3, first 2 shown]
	s_mov_b32 s2, 0x3f5db3d7
	s_waitcnt vmcnt(9)
	v_accvgpr_write_b32 a124, v110
	v_accvgpr_write_b32 a126, v111
	;; [unrolled: 1-line block ×8, first 2 shown]
	s_waitcnt vmcnt(7)
	v_accvgpr_write_b32 a112, v94
	v_accvgpr_write_b32 a114, v95
	v_accvgpr_write_b32 a111, v93
	v_accvgpr_write_b32 a110, v92
	v_accvgpr_write_b32 a118, v116
	v_accvgpr_write_b32 a117, v115
	v_accvgpr_write_b32 a116, v114
	s_waitcnt vmcnt(6)
	v_mov_b32_e32 v76, v99
	v_accvgpr_write_b32 a106, v98
	v_accvgpr_write_b32 a108, v99
	;; [unrolled: 1-line block ×6, first 2 shown]
	s_waitcnt vmcnt(5)
	v_accvgpr_write_b32 a100, v80
	v_accvgpr_write_b32 a102, v81
	;; [unrolled: 1-line block ×7, first 2 shown]
	s_waitcnt vmcnt(4)
	v_accvgpr_write_b32 a94, v84
	v_accvgpr_write_b32 a96, v85
	;; [unrolled: 1-line block ×6, first 2 shown]
	s_movk_i32 s18, 0xffe5
	s_mov_b32 s19, -1
	s_waitcnt vmcnt(2)
	v_accvgpr_write_b32 a86, v50
	v_accvgpr_write_b32 a88, v51
	;; [unrolled: 1-line block ×4, first 2 shown]
	s_waitcnt vmcnt(0) lgkmcnt(1)
	v_pk_mul_f32 v[8:9], v[2:3], v[36:37] op_sel:[0,1]
	s_nop 0
	v_pk_fma_f32 v[16:17], v[2:3], v[36:37], v[8:9] op_sel:[0,0,1] op_sel_hi:[1,1,0] neg_lo:[0,0,1] neg_hi:[0,0,1]
	v_pk_fma_f32 v[2:3], v[2:3], v[36:37], v[8:9] op_sel:[0,0,1] op_sel_hi:[1,0,0]
	v_mov_b32_e32 v8, v39
	v_mov_b32_e32 v17, v3
	s_waitcnt lgkmcnt(0)
	v_pk_mul_f32 v[2:3], v[6:7], v[8:9] op_sel_hi:[1,0]
	v_accvgpr_write_b32 a76, v39
	v_pk_fma_f32 v[14:15], v[6:7], v[38:39], v[2:3] op_sel:[0,0,1] op_sel_hi:[1,1,0] neg_lo:[0,0,1] neg_hi:[0,0,1]
	v_pk_fma_f32 v[2:3], v[6:7], v[38:39], v[2:3] op_sel:[0,0,1] op_sel_hi:[1,0,0]
	s_nop 0
	v_mov_b32_e32 v15, v3
	v_pk_add_f32 v[2:3], v[16:17], v[14:15]
	v_pk_add_f32 v[6:7], v[16:17], v[14:15] neg_lo:[0,1] neg_hi:[0,1]
	v_pk_fma_f32 v[2:3], v[2:3], 0.5, v[42:43] op_sel_hi:[1,0,1] neg_lo:[1,0,0] neg_hi:[1,0,0]
	v_pk_mul_f32 v[6:7], v[6:7], s[2:3] op_sel_hi:[1,0]
	s_nop 0
	v_pk_add_f32 v[12:13], v[2:3], v[6:7] op_sel:[0,1] op_sel_hi:[1,0] neg_lo:[0,1] neg_hi:[0,1]
	v_pk_add_f32 v[18:19], v[2:3], v[6:7] op_sel:[0,1] op_sel_hi:[1,0]
	v_mov_b64_e32 v[6:7], v[22:23]
	v_mov_b64_e32 v[8:9], v[24:25]
	v_pk_mul_f32 v[2:3], v[0:1], v[6:7] op_sel:[0,1]
	v_accvgpr_write_b32 a80, v8
	v_pk_fma_f32 v[20:21], v[0:1], v[6:7], v[2:3] op_sel:[0,0,1] op_sel_hi:[1,1,0] neg_lo:[0,0,1] neg_hi:[0,0,1]
	v_pk_fma_f32 v[0:1], v[0:1], v[6:7], v[2:3] op_sel:[0,0,1] op_sel_hi:[1,0,0]
	v_mov_b32_e32 v2, v9
	v_mov_b32_e32 v21, v1
	v_pk_mul_f32 v[0:1], v[4:5], v[2:3] op_sel_hi:[1,0]
	v_accvgpr_write_b32 a82, v9
	v_pk_fma_f32 v[24:25], v[4:5], v[8:9], v[0:1] op_sel:[0,0,1] op_sel_hi:[1,1,0] neg_lo:[0,0,1] neg_hi:[0,0,1]
	v_pk_fma_f32 v[0:1], v[4:5], v[8:9], v[0:1] op_sel:[0,0,1] op_sel_hi:[1,0,0]
	v_accvgpr_write_b32 a79, v7
	v_mov_b32_e32 v25, v1
	v_pk_add_f32 v[0:1], v[20:21], v[24:25]
	v_pk_add_f32 v[2:3], v[20:21], v[24:25] neg_lo:[0,1] neg_hi:[0,1]
	v_pk_fma_f32 v[0:1], v[0:1], 0.5, v[40:41] op_sel_hi:[1,0,1] neg_lo:[1,0,0] neg_hi:[1,0,0]
	v_pk_mul_f32 v[2:3], v[2:3], s[2:3] op_sel_hi:[1,0]
	v_accvgpr_write_b32 a78, v6
	v_pk_add_f32 v[22:23], v[0:1], v[2:3] op_sel:[0,1] op_sel_hi:[1,0] neg_lo:[0,1] neg_hi:[0,1]
	v_pk_add_f32 v[26:27], v[0:1], v[2:3] op_sel:[0,1] op_sel_hi:[1,0]
	ds_read2_b64 v[0:3], v251 offset0:102 offset1:183
	ds_read2_b64 v[4:7], v252 offset0:16 offset1:97
	;; [unrolled: 1-line block ×3, first 2 shown]
	s_waitcnt lgkmcnt(1)
	v_pk_mul_f32 v[28:29], v[6:7], v[48:49] op_sel:[0,1]
	s_nop 0
	v_pk_fma_f32 v[34:35], v[6:7], v[48:49], v[28:29] op_sel:[0,0,1] op_sel_hi:[1,1,0] neg_lo:[0,0,1] neg_hi:[0,0,1]
	v_pk_fma_f32 v[6:7], v[6:7], v[48:49], v[28:29] op_sel:[0,0,1] op_sel_hi:[1,0,0]
	v_mov_b32_e32 v28, v51
	v_mov_b32_e32 v35, v7
	s_waitcnt lgkmcnt(0)
	v_pk_mul_f32 v[6:7], v[10:11], v[28:29] op_sel_hi:[1,0]
	s_nop 0
	v_pk_fma_f32 v[32:33], v[10:11], v[50:51], v[6:7] op_sel:[0,0,1] op_sel_hi:[1,1,0] neg_lo:[0,0,1] neg_hi:[0,0,1]
	v_pk_fma_f32 v[6:7], v[10:11], v[50:51], v[6:7] op_sel:[0,0,1] op_sel_hi:[1,0,0]
	v_mov_b64_e32 v[52:53], v[46:47]
	v_mov_b32_e32 v33, v7
	v_pk_add_f32 v[6:7], v[34:35], v[32:33]
	v_pk_add_f32 v[10:11], v[34:35], v[32:33] neg_lo:[0,1] neg_hi:[0,1]
	v_pk_fma_f32 v[6:7], v[6:7], 0.5, v[2:3] op_sel_hi:[1,0,1] neg_lo:[1,0,0] neg_hi:[1,0,0]
	v_pk_mul_f32 v[10:11], v[10:11], s[2:3] op_sel_hi:[1,0]
	v_mov_b64_e32 v[50:51], v[44:45]
	v_pk_add_f32 v[28:29], v[6:7], v[10:11] op_sel:[0,1] op_sel_hi:[1,0] neg_lo:[0,1] neg_hi:[0,1]
	v_pk_add_f32 v[30:31], v[6:7], v[10:11] op_sel:[0,1] op_sel_hi:[1,0]
	v_pk_mul_f32 v[6:7], v[4:5], v[50:51] op_sel:[0,1]
	v_accvgpr_write_b32 a72, v52
	v_pk_fma_f32 v[44:45], v[4:5], v[50:51], v[6:7] op_sel:[0,0,1] op_sel_hi:[1,1,0] neg_lo:[0,0,1] neg_hi:[0,0,1]
	v_pk_fma_f32 v[4:5], v[4:5], v[50:51], v[6:7] op_sel:[0,0,1] op_sel_hi:[1,0,0]
	v_mov_b32_e32 v6, v53
	v_mov_b32_e32 v45, v5
	v_pk_mul_f32 v[4:5], v[8:9], v[6:7] op_sel_hi:[1,0]
	v_accvgpr_write_b32 a71, v51
	v_pk_fma_f32 v[48:49], v[8:9], v[52:53], v[4:5] op_sel:[0,0,1] op_sel_hi:[1,1,0] neg_lo:[0,0,1] neg_hi:[0,0,1]
	v_pk_fma_f32 v[4:5], v[8:9], v[52:53], v[4:5] op_sel:[0,0,1] op_sel_hi:[1,0,0]
	v_accvgpr_write_b32 a70, v50
	v_mov_b32_e32 v49, v5
	v_pk_add_f32 v[4:5], v[44:45], v[48:49]
	v_pk_add_f32 v[6:7], v[44:45], v[48:49] neg_lo:[0,1] neg_hi:[0,1]
	v_pk_fma_f32 v[4:5], v[4:5], 0.5, v[0:1] op_sel_hi:[1,0,1] neg_lo:[1,0,0] neg_hi:[1,0,0]
	v_pk_mul_f32 v[6:7], v[6:7], s[2:3] op_sel_hi:[1,0]
	v_accvgpr_write_b32 a90, v53
	v_pk_add_f32 v[46:47], v[4:5], v[6:7] op_sel:[0,1] op_sel_hi:[1,0] neg_lo:[0,1] neg_hi:[0,1]
	v_pk_add_f32 v[50:51], v[4:5], v[6:7] op_sel:[0,1] op_sel_hi:[1,0]
	ds_read2_b64 v[4:7], v163 offset0:68 offset1:149
	ds_read2_b64 v[8:11], v165 offset0:110 offset1:191
	;; [unrolled: 1-line block ×3, first 2 shown]
	v_pk_add_f32 v[0:1], v[0:1], v[44:45]
	s_waitcnt lgkmcnt(1)
	v_pk_mul_f32 v[52:53], v[10:11], v[82:83] op_sel:[0,1]
	s_nop 0
	v_pk_fma_f32 v[64:65], v[10:11], v[82:83], v[52:53] op_sel:[0,0,1] op_sel_hi:[1,1,0] neg_lo:[0,0,1] neg_hi:[0,0,1]
	v_pk_fma_f32 v[10:11], v[10:11], v[82:83], v[52:53] op_sel:[0,0,1] op_sel_hi:[1,0,0]
	v_mov_b32_e32 v52, v85
	v_mov_b32_e32 v65, v11
	s_waitcnt lgkmcnt(0)
	v_pk_mul_f32 v[10:11], v[70:71], v[52:53] op_sel_hi:[1,0]
	v_pk_add_f32 v[0:1], v[0:1], v[48:49]
	v_pk_fma_f32 v[62:63], v[70:71], v[84:85], v[10:11] op_sel:[0,0,1] op_sel_hi:[1,1,0] neg_lo:[0,0,1] neg_hi:[0,0,1]
	v_pk_fma_f32 v[10:11], v[70:71], v[84:85], v[10:11] op_sel:[0,0,1] op_sel_hi:[1,0,0]
	s_nop 0
	v_mov_b32_e32 v63, v11
	v_pk_add_f32 v[10:11], v[64:65], v[62:63]
	v_pk_add_f32 v[52:53], v[64:65], v[62:63] neg_lo:[0,1] neg_hi:[0,1]
	v_pk_fma_f32 v[10:11], v[10:11], 0.5, v[6:7] op_sel_hi:[1,0,1] neg_lo:[1,0,0] neg_hi:[1,0,0]
	v_pk_mul_f32 v[60:61], v[52:53], s[2:3] op_sel_hi:[1,0]
	s_nop 0
	v_pk_add_f32 v[52:53], v[10:11], v[60:61] op_sel:[0,1] op_sel_hi:[1,0] neg_lo:[0,1] neg_hi:[0,1]
	v_pk_add_f32 v[60:61], v[10:11], v[60:61] op_sel:[0,1] op_sel_hi:[1,0]
	v_pk_mul_f32 v[10:11], v[8:9], v[78:79] op_sel:[0,1]
	s_nop 0
	v_pk_fma_f32 v[66:67], v[8:9], v[78:79], v[10:11] op_sel:[0,0,1] op_sel_hi:[1,1,0] neg_lo:[0,0,1] neg_hi:[0,0,1]
	v_pk_fma_f32 v[8:9], v[8:9], v[78:79], v[10:11] op_sel:[0,0,1] op_sel_hi:[1,0,0]
	v_mov_b32_e32 v10, v81
	v_mov_b32_e32 v67, v9
	v_pk_mul_f32 v[8:9], v[68:69], v[10:11] op_sel_hi:[1,0]
	s_nop 0
	v_pk_fma_f32 v[70:71], v[68:69], v[80:81], v[8:9] op_sel:[0,0,1] op_sel_hi:[1,1,0] neg_lo:[0,0,1] neg_hi:[0,0,1]
	v_pk_fma_f32 v[8:9], v[68:69], v[80:81], v[8:9] op_sel:[0,0,1] op_sel_hi:[1,0,0]
	s_nop 0
	v_mov_b32_e32 v71, v9
	v_pk_add_f32 v[8:9], v[66:67], v[70:71]
	v_pk_add_f32 v[10:11], v[66:67], v[70:71] neg_lo:[0,1] neg_hi:[0,1]
	v_pk_fma_f32 v[8:9], v[8:9], 0.5, v[4:5] op_sel_hi:[1,0,1] neg_lo:[1,0,0] neg_hi:[1,0,0]
	v_pk_mul_f32 v[10:11], v[10:11], s[2:3] op_sel_hi:[1,0]
	v_pk_add_f32 v[4:5], v[4:5], v[66:67]
	v_pk_add_f32 v[68:69], v[8:9], v[10:11] op_sel:[0,1] op_sel_hi:[1,0] neg_lo:[0,1] neg_hi:[0,1]
	v_pk_add_f32 v[72:73], v[8:9], v[10:11] op_sel:[0,1] op_sel_hi:[1,0]
	ds_read2_b64 v[8:11], v160 offset0:162 offset1:243
	ds_read2_b64 v[84:87], v249 offset0:76 offset1:157
	;; [unrolled: 1-line block ×3, first 2 shown]
	v_pk_add_f32 v[4:5], v[4:5], v[70:71]
	s_waitcnt lgkmcnt(1)
	v_pk_mul_f32 v[74:75], v[86:87], v[96:97] op_sel:[0,1]
	s_nop 0
	v_pk_fma_f32 v[80:81], v[86:87], v[96:97], v[74:75] op_sel:[0,0,1] op_sel_hi:[1,1,0] neg_lo:[0,0,1] neg_hi:[0,0,1]
	v_pk_fma_f32 v[74:75], v[86:87], v[96:97], v[74:75] op_sel:[0,0,1] op_sel_hi:[1,0,0]
	v_pk_mul_f32 v[86:87], v[84:85], v[92:93] op_sel:[0,1]
	v_mov_b32_e32 v81, v75
	s_waitcnt lgkmcnt(0)
	v_pk_mul_f32 v[74:75], v[90:91], v[76:77] op_sel_hi:[1,0]
	s_nop 0
	v_pk_fma_f32 v[78:79], v[90:91], v[98:99], v[74:75] op_sel:[0,0,1] op_sel_hi:[1,1,0] neg_lo:[0,0,1] neg_hi:[0,0,1]
	v_pk_fma_f32 v[74:75], v[90:91], v[98:99], v[74:75] op_sel:[0,0,1] op_sel_hi:[1,0,0]
	s_nop 0
	v_mov_b32_e32 v79, v75
	v_pk_add_f32 v[74:75], v[80:81], v[78:79]
	s_nop 0
	v_pk_fma_f32 v[76:77], v[74:75], 0.5, v[10:11] op_sel_hi:[1,0,1] neg_lo:[1,0,0] neg_hi:[1,0,0]
	v_pk_add_f32 v[74:75], v[80:81], v[78:79] neg_lo:[0,1] neg_hi:[0,1]
	s_nop 0
	v_pk_mul_f32 v[82:83], v[74:75], s[2:3] op_sel_hi:[1,0]
	s_nop 0
	v_pk_add_f32 v[74:75], v[76:77], v[82:83] op_sel:[0,1] op_sel_hi:[1,0] neg_lo:[0,1] neg_hi:[0,1]
	v_pk_add_f32 v[76:77], v[76:77], v[82:83] op_sel:[0,1] op_sel_hi:[1,0]
	v_pk_fma_f32 v[82:83], v[84:85], v[92:93], v[86:87] op_sel:[0,0,1] op_sel_hi:[1,1,0] neg_lo:[0,0,1] neg_hi:[0,0,1]
	v_pk_fma_f32 v[84:85], v[84:85], v[92:93], v[86:87] op_sel:[0,0,1] op_sel_hi:[1,0,0]
	v_mov_b32_e32 v86, v95
	v_mov_b32_e32 v83, v85
	v_pk_mul_f32 v[84:85], v[88:89], v[86:87] op_sel_hi:[1,0]
	s_nop 0
	v_pk_fma_f32 v[98:99], v[88:89], v[94:95], v[84:85] op_sel:[0,0,1] op_sel_hi:[1,1,0] neg_lo:[0,0,1] neg_hi:[0,0,1]
	v_pk_fma_f32 v[84:85], v[88:89], v[94:95], v[84:85] op_sel:[0,0,1] op_sel_hi:[1,0,0]
	ds_read2_b64 v[86:89], v160 offset1:81
	ds_read2_b64 v[90:93], v254 offset0:42 offset1:123
	ds_read2_b64 v[94:97], v125 offset0:84 offset1:165
	s_waitcnt lgkmcnt(0)
	s_barrier
	v_pk_mul_f32 v[100:101], v[92:93], v[114:115] op_sel:[0,1]
	v_mov_b32_e32 v99, v85
	v_pk_fma_f32 v[102:103], v[92:93], v[114:115], v[100:101] op_sel:[0,0,1] op_sel_hi:[1,1,0] neg_lo:[0,0,1] neg_hi:[0,0,1]
	v_pk_fma_f32 v[92:93], v[92:93], v[114:115], v[100:101] op_sel:[0,0,1] op_sel_hi:[1,0,0]
	v_mov_b32_e32 v100, v117
	v_mov_b32_e32 v103, v93
	v_pk_mul_f32 v[92:93], v[96:97], v[100:101] op_sel_hi:[1,0]
	v_pk_add_f32 v[84:85], v[8:9], v[82:83]
	v_pk_fma_f32 v[100:101], v[96:97], v[116:117], v[92:93] op_sel:[0,0,1] op_sel_hi:[1,1,0] neg_lo:[0,0,1] neg_hi:[0,0,1]
	v_pk_fma_f32 v[92:93], v[96:97], v[116:117], v[92:93] op_sel:[0,0,1] op_sel_hi:[1,0,0]
	v_pk_mul_f32 v[96:97], v[90:91], v[108:109] op_sel:[0,1]
	v_mov_b32_e32 v101, v93
	v_pk_fma_f32 v[104:105], v[90:91], v[108:109], v[96:97] op_sel:[0,0,1] op_sel_hi:[1,1,0] neg_lo:[0,0,1] neg_hi:[0,0,1]
	v_pk_fma_f32 v[90:91], v[90:91], v[108:109], v[96:97] op_sel:[0,0,1] op_sel_hi:[1,0,0]
	v_mov_b32_e32 v96, v111
	v_mov_b32_e32 v105, v91
	v_pk_mul_f32 v[90:91], v[94:95], v[96:97] op_sel_hi:[1,0]
	v_pk_add_f32 v[92:93], v[88:89], v[102:103]
	v_pk_fma_f32 v[96:97], v[94:95], v[110:111], v[90:91] op_sel:[0,0,1] op_sel_hi:[1,1,0] neg_lo:[0,0,1] neg_hi:[0,0,1]
	v_pk_fma_f32 v[90:91], v[94:95], v[110:111], v[90:91] op_sel:[0,0,1] op_sel_hi:[1,0,0]
	v_pk_add_f32 v[92:93], v[92:93], v[100:101]
	v_mov_b32_e32 v97, v91
	v_pk_add_f32 v[94:95], v[104:105], v[96:97]
	v_pk_add_f32 v[90:91], v[86:87], v[104:105]
	v_pk_fma_f32 v[86:87], v[94:95], 0.5, v[86:87] op_sel_hi:[1,0,1] neg_lo:[1,0,0] neg_hi:[1,0,0]
	v_pk_add_f32 v[94:95], v[104:105], v[96:97] neg_lo:[0,1] neg_hi:[0,1]
	v_pk_add_f32 v[90:91], v[90:91], v[96:97]
	v_pk_mul_f32 v[94:95], v[94:95], s[2:3] op_sel_hi:[1,0]
	v_pk_add_f32 v[84:85], v[84:85], v[98:99]
	v_pk_add_f32 v[96:97], v[86:87], v[94:95] op_sel:[0,1] op_sel_hi:[1,0]
	v_pk_add_f32 v[86:87], v[86:87], v[94:95] op_sel:[0,1] op_sel_hi:[1,0] neg_lo:[0,1] neg_hi:[0,1]
	v_mov_b32_e32 v94, v96
	v_mov_b32_e32 v95, v87
	;; [unrolled: 1-line block ×3, first 2 shown]
	ds_write_b64 v123, v[86:87] offset:160
	v_pk_add_f32 v[86:87], v[102:103], v[100:101]
	ds_write2_b64 v123, v[90:91], v[94:95] offset1:10
	v_pk_fma_f32 v[86:87], v[86:87], 0.5, v[88:89] op_sel_hi:[1,0,1] neg_lo:[1,0,0] neg_hi:[1,0,0]
	v_pk_add_f32 v[88:89], v[102:103], v[100:101] neg_lo:[0,1] neg_hi:[0,1]
	s_nop 0
	v_pk_mul_f32 v[88:89], v[88:89], s[2:3] op_sel_hi:[1,0]
	s_nop 0
	v_pk_add_f32 v[90:91], v[86:87], v[88:89] op_sel:[0,1] op_sel_hi:[1,0]
	v_pk_add_f32 v[86:87], v[86:87], v[88:89] op_sel:[0,1] op_sel_hi:[1,0] neg_lo:[0,1] neg_hi:[0,1]
	v_mov_b32_e32 v88, v90
	v_mov_b32_e32 v89, v87
	;; [unrolled: 1-line block ×3, first 2 shown]
	ds_write_b64 v122, v[86:87] offset:160
	v_pk_add_f32 v[86:87], v[82:83], v[98:99]
	v_pk_add_f32 v[82:83], v[82:83], v[98:99] neg_lo:[0,1] neg_hi:[0,1]
	v_pk_fma_f32 v[8:9], v[86:87], 0.5, v[8:9] op_sel_hi:[1,0,1] neg_lo:[1,0,0] neg_hi:[1,0,0]
	v_pk_mul_f32 v[82:83], v[82:83], s[2:3] op_sel_hi:[1,0]
	ds_write2_b64 v122, v[92:93], v[88:89] offset1:10
	v_pk_add_f32 v[86:87], v[8:9], v[82:83] op_sel:[0,1] op_sel_hi:[1,0]
	v_pk_add_f32 v[8:9], v[8:9], v[82:83] op_sel:[0,1] op_sel_hi:[1,0] neg_lo:[0,1] neg_hi:[0,1]
	v_mov_b32_e32 v82, v86
	v_mov_b32_e32 v83, v9
	;; [unrolled: 1-line block ×3, first 2 shown]
	ds_write_b64 v121, v[8:9] offset:160
	v_pk_add_f32 v[8:9], v[10:11], v[80:81]
	v_mov_b32_e32 v10, v76
	v_pk_add_f32 v[8:9], v[8:9], v[78:79]
	v_mov_b32_e32 v11, v75
	ds_write2_b64 v121, v[84:85], v[82:83] offset1:10
	ds_write2_b64 v120, v[8:9], v[10:11] offset1:10
	v_mov_b32_e32 v75, v77
	v_mov_b32_e32 v8, v72
	;; [unrolled: 1-line block ×3, first 2 shown]
	ds_write_b64 v120, v[74:75] offset:160
	ds_write2_b64 v119, v[4:5], v[8:9] offset1:10
	v_pk_add_f32 v[4:5], v[6:7], v[64:65]
	v_mov_b32_e32 v69, v73
	v_pk_add_f32 v[4:5], v[4:5], v[62:63]
	v_mov_b32_e32 v6, v60
	v_mov_b32_e32 v7, v53
	ds_write_b64 v119, v[68:69] offset:160
	ds_write2_b64 v118, v[4:5], v[6:7] offset1:10
	v_mov_b32_e32 v53, v61
	v_mov_b32_e32 v4, v50
	;; [unrolled: 1-line block ×3, first 2 shown]
	ds_write_b64 v118, v[52:53] offset:160
	ds_write2_b64 v113, v[0:1], v[4:5] offset1:10
	v_pk_add_f32 v[0:1], v[2:3], v[34:35]
	v_mov_b32_e32 v47, v51
	v_pk_add_f32 v[0:1], v[0:1], v[32:33]
	v_mov_b32_e32 v2, v30
	v_mov_b32_e32 v3, v29
	ds_write_b64 v113, v[46:47] offset:160
	ds_write2_b64 v112, v[0:1], v[2:3] offset1:10
	v_pk_add_f32 v[0:1], v[40:41], v[20:21]
	v_mov_b32_e32 v29, v31
	v_pk_add_f32 v[0:1], v[0:1], v[24:25]
	v_mov_b32_e32 v2, v26
	v_mov_b32_e32 v3, v23
	ds_write_b64 v112, v[28:29] offset:160
	ds_write2_b64 v107, v[0:1], v[2:3] offset1:10
	v_pk_add_f32 v[0:1], v[42:43], v[16:17]
	v_mov_b32_e32 v23, v27
	v_pk_add_f32 v[0:1], v[0:1], v[14:15]
	v_mov_b32_e32 v2, v18
	v_mov_b32_e32 v3, v13
	s_movk_i32 s3, 0x89
	ds_write_b64 v107, v[22:23] offset:160
	ds_write2_b64 v106, v[0:1], v[2:3] offset1:10
	v_mul_lo_u16_sdwa v0, v56, s3 dst_sel:DWORD dst_unused:UNUSED_PAD src0_sel:BYTE_0 src1_sel:DWORD
	v_lshrrev_b16_e32 v2, 12, v0
	v_mul_lo_u16_e32 v0, 30, v2
	v_sub_u16_e32 v0, v56, v0
	v_and_b32_e32 v3, 0xff, v0
	v_mov_b32_e32 v13, v19
	v_lshlrev_b32_e32 v0, 4, v3
	ds_write_b64 v106, v[12:13] offset:160
	s_waitcnt lgkmcnt(0)
	s_barrier
	global_load_dwordx4 v[40:43], v0, s[6:7] offset:160
	v_mul_lo_u16_sdwa v0, v54, s3 dst_sel:DWORD dst_unused:UNUSED_PAD src0_sel:BYTE_0 src1_sel:DWORD
	v_lshrrev_b16_e32 v4, 12, v0
	v_mul_lo_u16_e32 v0, 30, v4
	v_sub_u16_e32 v0, v54, v0
	v_and_b32_e32 v5, 0xff, v0
	v_lshlrev_b32_e32 v0, 4, v5
	global_load_dwordx4 v[148:151], v0, s[6:7] offset:160
	v_mul_lo_u16_sdwa v0, v126, s3 dst_sel:DWORD dst_unused:UNUSED_PAD src0_sel:BYTE_0 src1_sel:DWORD
	v_lshrrev_b16_e32 v6, 12, v0
	v_mul_lo_u16_e32 v0, 30, v6
	v_sub_u16_e32 v0, v126, v0
	v_and_b32_e32 v7, 0xff, v0
	v_lshlrev_b32_e32 v0, 4, v7
	s_mov_b32 s3, 0x8889
	global_load_dwordx4 v[48:51], v0, s[6:7] offset:160
	v_mul_u32_u24_sdwa v0, v58, s3 dst_sel:DWORD dst_unused:UNUSED_PAD src0_sel:WORD_0 src1_sel:DWORD
	v_lshrrev_b32_e32 v8, 20, v0
	v_mul_lo_u16_e32 v0, 30, v8
	v_sub_u16_e32 v9, v58, v0
	v_lshlrev_b16_e32 v0, 4, v9
	v_mov_b32_e32 v1, v161
	v_lshl_add_u64 v[0:1], s[6:7], 0, v[0:1]
	global_load_dwordx4 v[32:35], v[0:1], off offset:160
	v_mul_u32_u24_sdwa v0, v166, s3 dst_sel:DWORD dst_unused:UNUSED_PAD src0_sel:WORD_0 src1_sel:DWORD
	v_lshrrev_b32_e32 v10, 20, v0
	v_mul_lo_u16_e32 v0, 30, v10
	v_sub_u16_e32 v11, v166, v0
	v_lshlrev_b16_e32 v0, 4, v11
	v_mov_b32_e32 v1, v161
	v_lshl_add_u64 v[0:1], s[6:7], 0, v[0:1]
	global_load_dwordx4 v[28:31], v[0:1], off offset:160
	;; [unrolled: 8-line block ×7, first 2 shown]
	v_mul_u32_u24_e32 v0, 0x5a, v2
	v_add_lshl_u32 v156, v0, v3, 3
	v_mul_u32_u24_e32 v0, 0x5a, v4
	s_movk_i32 s3, 0x5a
	v_add_lshl_u32 v155, v0, v5, 3
	v_mul_u32_u24_e32 v0, 0x5a, v6
	v_add_lshl_u32 v154, v0, v7, 3
	v_mad_legacy_u16 v0, v8, s3, v9
	v_lshlrev_b32_e32 v153, 3, v0
	v_mad_legacy_u16 v0, v10, s3, v11
	v_lshlrev_b32_e32 v152, 3, v0
	;; [unrolled: 2-line block ×7, first 2 shown]
	ds_read2_b64 v[80:83], v124 offset0:136 offset1:217
	ds_read2_b64 v[0:3], v248 offset0:50 offset1:131
	;; [unrolled: 1-line block ×3, first 2 shown]
	s_waitcnt vmcnt(8)
	v_accvgpr_write_b32 a144, v148
	v_accvgpr_write_b32 a145, v149
	;; [unrolled: 1-line block ×9, first 2 shown]
	s_waitcnt vmcnt(6)
	v_mov_b32_e32 v116, v35
	v_accvgpr_write_b32 a140, v35
	v_accvgpr_write_b32 a142, v51
	;; [unrolled: 1-line block ×7, first 2 shown]
	s_waitcnt vmcnt(5)
	v_accvgpr_write_b32 a138, v31
	v_accvgpr_write_b32 a109, v154
	s_waitcnt vmcnt(4)
	v_accvgpr_write_b32 a136, v63
	s_waitcnt vmcnt(3)
	;; [unrolled: 2-line block ×4, first 2 shown]
	v_accvgpr_write_b32 a130, v75
	s_waitcnt vmcnt(0) lgkmcnt(1)
	v_pk_mul_f32 v[8:9], v[2:3], v[76:77] op_sel:[0,1]
	s_nop 0
	v_pk_fma_f32 v[18:19], v[2:3], v[76:77], v[8:9] op_sel:[0,0,1] op_sel_hi:[1,1,0] neg_lo:[0,0,1] neg_hi:[0,0,1]
	v_pk_fma_f32 v[2:3], v[2:3], v[76:77], v[8:9] op_sel:[0,0,1] op_sel_hi:[1,0,0]
	v_mov_b32_e32 v8, v79
	v_mov_b32_e32 v19, v3
	s_waitcnt lgkmcnt(0)
	v_pk_mul_f32 v[2:3], v[6:7], v[8:9] op_sel_hi:[1,0]
	s_nop 0
	v_pk_fma_f32 v[16:17], v[6:7], v[78:79], v[2:3] op_sel:[0,0,1] op_sel_hi:[1,1,0] neg_lo:[0,0,1] neg_hi:[0,0,1]
	v_pk_fma_f32 v[2:3], v[6:7], v[78:79], v[2:3] op_sel:[0,0,1] op_sel_hi:[1,0,0]
	s_nop 0
	v_mov_b32_e32 v17, v3
	v_pk_add_f32 v[2:3], v[18:19], v[16:17]
	v_pk_add_f32 v[6:7], v[18:19], v[16:17] neg_lo:[0,1] neg_hi:[0,1]
	v_pk_fma_f32 v[2:3], v[2:3], 0.5, v[82:83] op_sel_hi:[1,0,1] neg_lo:[1,0,0] neg_hi:[1,0,0]
	v_pk_mul_f32 v[6:7], v[6:7], s[2:3] op_sel_hi:[1,0]
	s_nop 0
	v_pk_add_f32 v[12:13], v[2:3], v[6:7] op_sel:[0,1] op_sel_hi:[1,0] neg_lo:[0,1] neg_hi:[0,1]
	v_pk_add_f32 v[14:15], v[2:3], v[6:7] op_sel:[0,1] op_sel_hi:[1,0]
	v_pk_mul_f32 v[2:3], v[0:1], v[72:73] op_sel:[0,1]
	s_nop 0
	v_pk_fma_f32 v[20:21], v[0:1], v[72:73], v[2:3] op_sel:[0,0,1] op_sel_hi:[1,1,0] neg_lo:[0,0,1] neg_hi:[0,0,1]
	v_pk_fma_f32 v[0:1], v[0:1], v[72:73], v[2:3] op_sel:[0,0,1] op_sel_hi:[1,0,0]
	v_mov_b32_e32 v2, v75
	v_mov_b32_e32 v21, v1
	v_pk_mul_f32 v[0:1], v[4:5], v[2:3] op_sel_hi:[1,0]
	s_nop 0
	v_pk_fma_f32 v[26:27], v[4:5], v[74:75], v[0:1] op_sel:[0,0,1] op_sel_hi:[1,1,0] neg_lo:[0,0,1] neg_hi:[0,0,1]
	v_pk_fma_f32 v[0:1], v[4:5], v[74:75], v[0:1] op_sel:[0,0,1] op_sel_hi:[1,0,0]
	s_nop 0
	v_mov_b32_e32 v27, v1
	v_pk_add_f32 v[0:1], v[20:21], v[26:27]
	v_pk_add_f32 v[2:3], v[20:21], v[26:27] neg_lo:[0,1] neg_hi:[0,1]
	v_pk_fma_f32 v[0:1], v[0:1], 0.5, v[80:81] op_sel_hi:[1,0,1] neg_lo:[1,0,0] neg_hi:[1,0,0]
	v_pk_mul_f32 v[2:3], v[2:3], s[2:3] op_sel_hi:[1,0]
	s_nop 0
	v_pk_add_f32 v[22:23], v[0:1], v[2:3] op_sel:[0,1] op_sel_hi:[1,0] neg_lo:[0,1] neg_hi:[0,1]
	v_pk_add_f32 v[24:25], v[0:1], v[2:3] op_sel:[0,1] op_sel_hi:[1,0]
	ds_read2_b64 v[0:3], v251 offset0:102 offset1:183
	ds_read2_b64 v[4:7], v252 offset0:16 offset1:97
	;; [unrolled: 1-line block ×3, first 2 shown]
	s_waitcnt lgkmcnt(1)
	v_pk_mul_f32 v[52:53], v[6:7], v[68:69] op_sel:[0,1]
	s_nop 0
	v_pk_fma_f32 v[88:89], v[6:7], v[68:69], v[52:53] op_sel:[0,0,1] op_sel_hi:[1,1,0] neg_lo:[0,0,1] neg_hi:[0,0,1]
	v_pk_fma_f32 v[6:7], v[6:7], v[68:69], v[52:53] op_sel:[0,0,1] op_sel_hi:[1,0,0]
	v_mov_b32_e32 v52, v71
	v_mov_b32_e32 v89, v7
	s_waitcnt lgkmcnt(0)
	v_pk_mul_f32 v[6:7], v[10:11], v[52:53] op_sel_hi:[1,0]
	s_nop 0
	v_pk_fma_f32 v[86:87], v[10:11], v[70:71], v[6:7] op_sel:[0,0,1] op_sel_hi:[1,1,0] neg_lo:[0,0,1] neg_hi:[0,0,1]
	v_pk_fma_f32 v[6:7], v[10:11], v[70:71], v[6:7] op_sel:[0,0,1] op_sel_hi:[1,0,0]
	s_nop 0
	v_mov_b32_e32 v87, v7
	v_pk_add_f32 v[6:7], v[88:89], v[86:87]
	v_pk_add_f32 v[10:11], v[88:89], v[86:87] neg_lo:[0,1] neg_hi:[0,1]
	v_pk_fma_f32 v[6:7], v[6:7], 0.5, v[2:3] op_sel_hi:[1,0,1] neg_lo:[1,0,0] neg_hi:[1,0,0]
	v_pk_mul_f32 v[10:11], v[10:11], s[2:3] op_sel_hi:[1,0]
	s_nop 0
	v_pk_add_f32 v[52:53], v[6:7], v[10:11] op_sel:[0,1] op_sel_hi:[1,0] neg_lo:[0,1] neg_hi:[0,1]
	v_pk_add_f32 v[84:85], v[6:7], v[10:11] op_sel:[0,1] op_sel_hi:[1,0]
	v_pk_mul_f32 v[6:7], v[4:5], v[64:65] op_sel:[0,1]
	s_nop 0
	v_pk_fma_f32 v[90:91], v[4:5], v[64:65], v[6:7] op_sel:[0,0,1] op_sel_hi:[1,1,0] neg_lo:[0,0,1] neg_hi:[0,0,1]
	v_pk_fma_f32 v[4:5], v[4:5], v[64:65], v[6:7] op_sel:[0,0,1] op_sel_hi:[1,0,0]
	v_mov_b32_e32 v6, v67
	v_mov_b32_e32 v91, v5
	v_pk_mul_f32 v[4:5], v[8:9], v[6:7] op_sel_hi:[1,0]
	s_nop 0
	v_pk_fma_f32 v[96:97], v[8:9], v[66:67], v[4:5] op_sel:[0,0,1] op_sel_hi:[1,1,0] neg_lo:[0,0,1] neg_hi:[0,0,1]
	v_pk_fma_f32 v[4:5], v[8:9], v[66:67], v[4:5] op_sel:[0,0,1] op_sel_hi:[1,0,0]
	s_nop 0
	v_mov_b32_e32 v97, v5
	v_pk_add_f32 v[4:5], v[90:91], v[96:97]
	v_pk_add_f32 v[6:7], v[90:91], v[96:97] neg_lo:[0,1] neg_hi:[0,1]
	v_pk_fma_f32 v[4:5], v[4:5], 0.5, v[0:1] op_sel_hi:[1,0,1] neg_lo:[1,0,0] neg_hi:[1,0,0]
	v_pk_mul_f32 v[6:7], v[6:7], s[2:3] op_sel_hi:[1,0]
	v_pk_add_f32 v[0:1], v[0:1], v[90:91]
	v_pk_add_f32 v[92:93], v[4:5], v[6:7] op_sel:[0,1] op_sel_hi:[1,0] neg_lo:[0,1] neg_hi:[0,1]
	v_pk_add_f32 v[94:95], v[4:5], v[6:7] op_sel:[0,1] op_sel_hi:[1,0]
	ds_read2_b64 v[4:7], v163 offset0:68 offset1:149
	ds_read2_b64 v[8:11], v165 offset0:110 offset1:191
	;; [unrolled: 1-line block ×3, first 2 shown]
	v_pk_add_f32 v[0:1], v[0:1], v[96:97]
	s_waitcnt lgkmcnt(1)
	v_pk_mul_f32 v[98:99], v[10:11], v[60:61] op_sel:[0,1]
	s_nop 0
	v_pk_fma_f32 v[104:105], v[10:11], v[60:61], v[98:99] op_sel:[0,0,1] op_sel_hi:[1,1,0] neg_lo:[0,0,1] neg_hi:[0,0,1]
	v_pk_fma_f32 v[10:11], v[10:11], v[60:61], v[98:99] op_sel:[0,0,1] op_sel_hi:[1,0,0]
	v_mov_b32_e32 v98, v63
	v_mov_b32_e32 v105, v11
	s_waitcnt lgkmcnt(0)
	v_pk_mul_f32 v[10:11], v[110:111], v[98:99] op_sel_hi:[1,0]
	s_nop 0
	v_pk_fma_f32 v[102:103], v[110:111], v[62:63], v[10:11] op_sel:[0,0,1] op_sel_hi:[1,1,0] neg_lo:[0,0,1] neg_hi:[0,0,1]
	v_pk_fma_f32 v[10:11], v[110:111], v[62:63], v[10:11] op_sel:[0,0,1] op_sel_hi:[1,0,0]
	s_nop 0
	v_mov_b32_e32 v103, v11
	v_pk_add_f32 v[10:11], v[104:105], v[102:103]
	v_pk_add_f32 v[98:99], v[104:105], v[102:103] neg_lo:[0,1] neg_hi:[0,1]
	v_pk_fma_f32 v[10:11], v[10:11], 0.5, v[6:7] op_sel_hi:[1,0,1] neg_lo:[1,0,0] neg_hi:[1,0,0]
	v_pk_mul_f32 v[100:101], v[98:99], s[2:3] op_sel_hi:[1,0]
	s_nop 0
	v_pk_add_f32 v[98:99], v[10:11], v[100:101] op_sel:[0,1] op_sel_hi:[1,0] neg_lo:[0,1] neg_hi:[0,1]
	v_pk_add_f32 v[100:101], v[10:11], v[100:101] op_sel:[0,1] op_sel_hi:[1,0]
	v_pk_mul_f32 v[10:11], v[8:9], v[28:29] op_sel:[0,1]
	s_nop 0
	v_pk_fma_f32 v[106:107], v[8:9], v[28:29], v[10:11] op_sel:[0,0,1] op_sel_hi:[1,1,0] neg_lo:[0,0,1] neg_hi:[0,0,1]
	v_pk_fma_f32 v[8:9], v[8:9], v[28:29], v[10:11] op_sel:[0,0,1] op_sel_hi:[1,0,0]
	v_mov_b32_e32 v10, v31
	v_mov_b32_e32 v107, v9
	v_pk_mul_f32 v[8:9], v[108:109], v[10:11] op_sel_hi:[1,0]
	s_nop 0
	v_pk_fma_f32 v[112:113], v[108:109], v[30:31], v[8:9] op_sel:[0,0,1] op_sel_hi:[1,1,0] neg_lo:[0,0,1] neg_hi:[0,0,1]
	v_pk_fma_f32 v[8:9], v[108:109], v[30:31], v[8:9] op_sel:[0,0,1] op_sel_hi:[1,0,0]
	s_nop 0
	v_mov_b32_e32 v113, v9
	v_pk_add_f32 v[8:9], v[106:107], v[112:113]
	v_pk_add_f32 v[10:11], v[106:107], v[112:113] neg_lo:[0,1] neg_hi:[0,1]
	v_pk_fma_f32 v[8:9], v[8:9], 0.5, v[4:5] op_sel_hi:[1,0,1] neg_lo:[1,0,0] neg_hi:[1,0,0]
	v_pk_mul_f32 v[10:11], v[10:11], s[2:3] op_sel_hi:[1,0]
	v_pk_add_f32 v[4:5], v[4:5], v[106:107]
	v_pk_add_f32 v[108:109], v[8:9], v[10:11] op_sel:[0,1] op_sel_hi:[1,0] neg_lo:[0,1] neg_hi:[0,1]
	v_pk_add_f32 v[110:111], v[8:9], v[10:11] op_sel:[0,1] op_sel_hi:[1,0]
	ds_read2_b64 v[8:11], v160 offset0:162 offset1:243
	ds_read2_b64 v[128:131], v249 offset0:76 offset1:157
	;; [unrolled: 1-line block ×3, first 2 shown]
	v_pk_add_f32 v[4:5], v[4:5], v[112:113]
	s_waitcnt lgkmcnt(1)
	v_pk_mul_f32 v[114:115], v[130:131], v[32:33] op_sel:[0,1]
	s_nop 0
	v_pk_fma_f32 v[120:121], v[130:131], v[32:33], v[114:115] op_sel:[0,0,1] op_sel_hi:[1,1,0] neg_lo:[0,0,1] neg_hi:[0,0,1]
	v_pk_fma_f32 v[114:115], v[130:131], v[32:33], v[114:115] op_sel:[0,0,1] op_sel_hi:[1,0,0]
	v_pk_mul_f32 v[130:131], v[128:129], v[48:49] op_sel:[0,1]
	v_mov_b32_e32 v121, v115
	s_waitcnt lgkmcnt(0)
	v_pk_mul_f32 v[114:115], v[134:135], v[116:117] op_sel_hi:[1,0]
	s_nop 0
	v_pk_fma_f32 v[118:119], v[134:135], v[34:35], v[114:115] op_sel:[0,0,1] op_sel_hi:[1,1,0] neg_lo:[0,0,1] neg_hi:[0,0,1]
	v_pk_fma_f32 v[114:115], v[134:135], v[34:35], v[114:115] op_sel:[0,0,1] op_sel_hi:[1,0,0]
	s_nop 0
	v_mov_b32_e32 v119, v115
	v_pk_add_f32 v[114:115], v[120:121], v[118:119]
	s_nop 0
	v_pk_fma_f32 v[116:117], v[114:115], 0.5, v[10:11] op_sel_hi:[1,0,1] neg_lo:[1,0,0] neg_hi:[1,0,0]
	v_pk_add_f32 v[114:115], v[120:121], v[118:119] neg_lo:[0,1] neg_hi:[0,1]
	s_nop 0
	v_pk_mul_f32 v[122:123], v[114:115], s[2:3] op_sel_hi:[1,0]
	s_nop 0
	v_pk_add_f32 v[114:115], v[116:117], v[122:123] op_sel:[0,1] op_sel_hi:[1,0] neg_lo:[0,1] neg_hi:[0,1]
	v_pk_add_f32 v[116:117], v[116:117], v[122:123] op_sel:[0,1] op_sel_hi:[1,0]
	v_pk_fma_f32 v[122:123], v[128:129], v[48:49], v[130:131] op_sel:[0,0,1] op_sel_hi:[1,1,0] neg_lo:[0,0,1] neg_hi:[0,0,1]
	v_pk_fma_f32 v[128:129], v[128:129], v[48:49], v[130:131] op_sel:[0,0,1] op_sel_hi:[1,0,0]
	v_mov_b32_e32 v130, v51
	v_mov_b32_e32 v123, v129
	v_pk_mul_f32 v[128:129], v[132:133], v[130:131] op_sel_hi:[1,0]
	s_nop 0
	v_pk_fma_f32 v[130:131], v[132:133], v[50:51], v[128:129] op_sel:[0,0,1] op_sel_hi:[1,1,0] neg_lo:[0,0,1] neg_hi:[0,0,1]
	v_pk_fma_f32 v[128:129], v[132:133], v[50:51], v[128:129] op_sel:[0,0,1] op_sel_hi:[1,0,0]
	ds_read2_b64 v[132:135], v160 offset1:81
	ds_read2_b64 v[136:139], v254 offset0:42 offset1:123
	ds_read2_b64 v[140:143], v125 offset0:84 offset1:165
	s_waitcnt lgkmcnt(0)
	s_barrier
	v_pk_mul_f32 v[144:145], v[138:139], v[148:149] op_sel:[0,1]
	v_mov_b32_e32 v131, v129
	v_pk_fma_f32 v[146:147], v[138:139], v[148:149], v[144:145] op_sel:[0,0,1] op_sel_hi:[1,1,0] neg_lo:[0,0,1] neg_hi:[0,0,1]
	v_pk_fma_f32 v[138:139], v[138:139], v[148:149], v[144:145] op_sel:[0,0,1] op_sel_hi:[1,0,0]
	v_mov_b32_e32 v144, v151
	v_mov_b32_e32 v147, v139
	v_pk_mul_f32 v[138:139], v[142:143], v[144:145] op_sel_hi:[1,0]
	v_pk_add_f32 v[128:129], v[8:9], v[122:123]
	v_pk_fma_f32 v[144:145], v[142:143], v[150:151], v[138:139] op_sel:[0,0,1] op_sel_hi:[1,1,0] neg_lo:[0,0,1] neg_hi:[0,0,1]
	v_pk_fma_f32 v[138:139], v[142:143], v[150:151], v[138:139] op_sel:[0,0,1] op_sel_hi:[1,0,0]
	v_pk_mul_f32 v[142:143], v[136:137], v[40:41] op_sel:[0,1]
	v_mov_b32_e32 v145, v139
	v_pk_fma_f32 v[148:149], v[136:137], v[40:41], v[142:143] op_sel:[0,0,1] op_sel_hi:[1,1,0] neg_lo:[0,0,1] neg_hi:[0,0,1]
	v_pk_fma_f32 v[136:137], v[136:137], v[40:41], v[142:143] op_sel:[0,0,1] op_sel_hi:[1,0,0]
	v_mov_b32_e32 v142, v43
	v_mov_b32_e32 v149, v137
	v_pk_mul_f32 v[136:137], v[140:141], v[142:143] op_sel_hi:[1,0]
	v_pk_add_f32 v[138:139], v[134:135], v[146:147]
	v_pk_fma_f32 v[142:143], v[140:141], v[42:43], v[136:137] op_sel:[0,0,1] op_sel_hi:[1,1,0] neg_lo:[0,0,1] neg_hi:[0,0,1]
	v_pk_fma_f32 v[136:137], v[140:141], v[42:43], v[136:137] op_sel:[0,0,1] op_sel_hi:[1,0,0]
	v_pk_add_f32 v[128:129], v[128:129], v[130:131]
	v_mov_b32_e32 v143, v137
	v_pk_add_f32 v[140:141], v[148:149], v[142:143]
	v_pk_add_f32 v[136:137], v[132:133], v[148:149]
	v_pk_fma_f32 v[132:133], v[140:141], 0.5, v[132:133] op_sel_hi:[1,0,1] neg_lo:[1,0,0] neg_hi:[1,0,0]
	v_pk_add_f32 v[140:141], v[148:149], v[142:143] neg_lo:[0,1] neg_hi:[0,1]
	v_pk_add_f32 v[136:137], v[136:137], v[142:143]
	v_pk_mul_f32 v[140:141], v[140:141], s[2:3] op_sel_hi:[1,0]
	v_pk_add_f32 v[138:139], v[138:139], v[144:145]
	v_pk_add_f32 v[142:143], v[132:133], v[140:141] op_sel:[0,1] op_sel_hi:[1,0]
	v_pk_add_f32 v[132:133], v[132:133], v[140:141] op_sel:[0,1] op_sel_hi:[1,0] neg_lo:[0,1] neg_hi:[0,1]
	v_mov_b32_e32 v140, v142
	v_mov_b32_e32 v141, v133
	;; [unrolled: 1-line block ×3, first 2 shown]
	ds_write_b64 v156, v[132:133] offset:480
	v_pk_add_f32 v[132:133], v[146:147], v[144:145]
	ds_write2_b64 v156, v[136:137], v[140:141] offset1:30
	v_pk_fma_f32 v[132:133], v[132:133], 0.5, v[134:135] op_sel_hi:[1,0,1] neg_lo:[1,0,0] neg_hi:[1,0,0]
	v_pk_add_f32 v[134:135], v[146:147], v[144:145] neg_lo:[0,1] neg_hi:[0,1]
	s_nop 0
	v_pk_mul_f32 v[134:135], v[134:135], s[2:3] op_sel_hi:[1,0]
	s_nop 0
	v_pk_add_f32 v[136:137], v[132:133], v[134:135] op_sel:[0,1] op_sel_hi:[1,0]
	v_pk_add_f32 v[132:133], v[132:133], v[134:135] op_sel:[0,1] op_sel_hi:[1,0] neg_lo:[0,1] neg_hi:[0,1]
	v_mov_b32_e32 v134, v136
	v_mov_b32_e32 v135, v133
	;; [unrolled: 1-line block ×3, first 2 shown]
	ds_write_b64 v155, v[132:133] offset:480
	v_pk_add_f32 v[132:133], v[122:123], v[130:131]
	v_pk_add_f32 v[122:123], v[122:123], v[130:131] neg_lo:[0,1] neg_hi:[0,1]
	v_pk_fma_f32 v[8:9], v[132:133], 0.5, v[8:9] op_sel_hi:[1,0,1] neg_lo:[1,0,0] neg_hi:[1,0,0]
	v_pk_mul_f32 v[122:123], v[122:123], s[2:3] op_sel_hi:[1,0]
	ds_write2_b64 v155, v[138:139], v[134:135] offset1:30
	v_pk_add_f32 v[130:131], v[8:9], v[122:123] op_sel:[0,1] op_sel_hi:[1,0]
	v_pk_add_f32 v[8:9], v[8:9], v[122:123] op_sel:[0,1] op_sel_hi:[1,0] neg_lo:[0,1] neg_hi:[0,1]
	v_mov_b32_e32 v122, v130
	v_mov_b32_e32 v123, v9
	;; [unrolled: 1-line block ×3, first 2 shown]
	ds_write_b64 v154, v[8:9] offset:480
	v_pk_add_f32 v[8:9], v[10:11], v[120:121]
	v_mov_b32_e32 v10, v116
	v_pk_add_f32 v[8:9], v[8:9], v[118:119]
	v_mov_b32_e32 v11, v115
	ds_write2_b64 v154, v[128:129], v[122:123] offset1:30
	ds_write2_b64 v153, v[8:9], v[10:11] offset1:30
	v_mov_b32_e32 v115, v117
	v_mov_b32_e32 v8, v110
	;; [unrolled: 1-line block ×3, first 2 shown]
	ds_write_b64 v153, v[114:115] offset:480
	ds_write2_b64 v152, v[4:5], v[8:9] offset1:30
	v_pk_add_f32 v[4:5], v[6:7], v[104:105]
	v_mov_b32_e32 v109, v111
	v_pk_add_f32 v[4:5], v[4:5], v[102:103]
	v_mov_b32_e32 v6, v100
	v_mov_b32_e32 v7, v99
	ds_write_b64 v152, v[108:109] offset:480
	ds_write2_b64 v47, v[4:5], v[6:7] offset1:30
	v_mov_b32_e32 v99, v101
	v_mov_b32_e32 v4, v94
	;; [unrolled: 1-line block ×3, first 2 shown]
	ds_write_b64 v47, v[98:99] offset:480
	ds_write2_b64 v46, v[0:1], v[4:5] offset1:30
	v_pk_add_f32 v[0:1], v[2:3], v[88:89]
	v_mov_b32_e32 v93, v95
	v_pk_add_f32 v[0:1], v[0:1], v[86:87]
	v_mov_b32_e32 v2, v84
	v_mov_b32_e32 v3, v53
	ds_write_b64 v46, v[92:93] offset:480
	ds_write2_b64 v45, v[0:1], v[2:3] offset1:30
	v_pk_add_f32 v[0:1], v[80:81], v[20:21]
	v_mov_b32_e32 v53, v85
	v_pk_add_f32 v[0:1], v[0:1], v[26:27]
	v_mov_b32_e32 v2, v24
	v_mov_b32_e32 v3, v23
	;; [unrolled: 7-line block ×3, first 2 shown]
	ds_write_b64 v44, v[22:23] offset:480
	ds_write2_b64 v39, v[0:1], v[2:3] offset1:30
	v_lshl_add_u64 v[0:1], v[56:57], 0, -9
	v_cndmask_b32_e32 v1, v1, v55, vcc
	v_cndmask_b32_e32 v0, v0, v54, vcc
	s_movk_i32 s3, 0xb7
	v_lshl_add_u64 v[2:3], v[0:1], 4, s[6:7]
	v_mul_lo_u16_sdwa v1, v126, s3 dst_sel:DWORD dst_unused:UNUSED_PAD src0_sel:BYTE_0 src1_sel:DWORD
	v_mov_b32_e32 v13, v15
	v_lshrrev_b16_e32 v1, 14, v1
	ds_write_b64 v39, v[12:13] offset:480
	s_waitcnt lgkmcnt(0)
	s_barrier
	global_load_dwordx4 v[100:103], v[2:3], off offset:640
	v_mul_lo_u16_e32 v2, 0x5a, v1
	v_sub_u16_e32 v2, v126, v2
	v_and_b32_e32 v16, 0xff, v2
	v_lshlrev_b32_e32 v26, 4, v56
	v_lshlrev_b32_e32 v2, 4, v16
	s_movk_i32 s3, 0x2d83
	global_load_dwordx4 v[108:111], v26, s[6:7] offset:640
	global_load_dwordx4 v[84:87], v2, s[6:7] offset:640
	v_mul_u32_u24_sdwa v2, v58, s3 dst_sel:DWORD dst_unused:UNUSED_PAD src0_sel:WORD_0 src1_sel:DWORD
	v_lshrrev_b32_e32 v17, 20, v2
	v_mul_lo_u16_e32 v2, 0x5a, v17
	v_sub_u16_e32 v18, v58, v2
	v_lshlrev_b16_e32 v2, 4, v18
	v_mov_b32_e32 v3, v161
	v_lshl_add_u64 v[2:3], s[6:7], 0, v[2:3]
	global_load_dwordx4 v[88:91], v[2:3], off offset:640
	v_mul_u32_u24_sdwa v2, v166, s3 dst_sel:DWORD dst_unused:UNUSED_PAD src0_sel:WORD_0 src1_sel:DWORD
	v_lshrrev_b32_e32 v19, 20, v2
	v_mul_lo_u16_e32 v2, 0x5a, v19
	v_sub_u16_e32 v20, v166, v2
	v_lshlrev_b16_e32 v2, 4, v20
	v_mov_b32_e32 v3, v161
	v_lshl_add_u64 v[2:3], s[6:7], 0, v[2:3]
	global_load_dwordx4 v[92:95], v[2:3], off offset:640
	;; [unrolled: 8-line block ×3, first 2 shown]
	v_mul_u32_u24_sdwa v2, v162, s3 dst_sel:DWORD dst_unused:UNUSED_PAD src0_sel:WORD_0 src1_sel:DWORD
	v_lshrrev_b32_e32 v23, 20, v2
	v_mov_b32_e32 v27, v161
	v_mul_lo_u16_e32 v2, 0x5a, v23
	v_lshl_add_u64 v[24:25], s[6:7], 0, v[26:27]
	v_sub_u16_e32 v27, v162, v2
	v_lshlrev_b16_e32 v2, 4, v27
	v_mov_b32_e32 v3, v161
	v_lshl_add_u64 v[2:3], s[6:7], 0, v[2:3]
	global_load_dwordx4 v[80:83], v[2:3], off offset:640
	v_mul_u32_u24_sdwa v2, v164, s3 dst_sel:DWORD dst_unused:UNUSED_PAD src0_sel:WORD_0 src1_sel:DWORD
	v_lshrrev_b32_e32 v31, 20, v2
	v_mul_lo_u16_e32 v2, 0x5a, v31
	v_sub_u16_e32 v35, v164, v2
	v_lshlrev_b16_e32 v2, 4, v35
	v_mov_b32_e32 v3, v161
	v_lshl_add_u64 v[2:3], s[6:7], 0, v[2:3]
	global_load_dwordx4 v[44:47], v[2:3], off offset:640
	v_mul_u32_u24_sdwa v2, v204, s3 dst_sel:DWORD dst_unused:UNUSED_PAD src0_sel:WORD_0 src1_sel:DWORD
	v_lshrrev_b32_e32 v39, 20, v2
	v_mul_lo_u16_e32 v2, 0x5a, v39
	;; [unrolled: 8-line block ×3, first 2 shown]
	v_sub_u16_e32 v51, v202, v2
	v_lshlrev_b16_e32 v2, 4, v51
	v_mov_b32_e32 v3, v161
	v_lshl_add_u64 v[2:3], s[6:7], 0, v[2:3]
	global_load_dwordx4 v[116:119], v[2:3], off offset:640
	ds_read2_b64 v[4:7], v160 offset1:81
	ds_read2_b64 v[12:15], v254 offset0:42 offset1:123
	ds_read2_b64 v[8:11], v125 offset0:84 offset1:165
	v_cmp_lt_u16_e32 vcc, 8, v56
	s_movk_i32 s3, 0x10e
	s_waitcnt vmcnt(9) lgkmcnt(1)
	v_pk_mul_f32 v[206:207], v[14:15], v[100:101] op_sel:[0,1]
	v_accvgpr_write_b32 a172, v102
	v_accvgpr_write_b32 a174, v103
	;; [unrolled: 1-line block ×4, first 2 shown]
	s_waitcnt vmcnt(8)
	v_pk_mul_f32 v[2:3], v[12:13], v[108:109] op_sel:[0,1]
	s_nop 0
	v_pk_fma_f32 v[146:147], v[12:13], v[108:109], v[2:3] op_sel:[0,0,1] op_sel_hi:[1,1,0] neg_lo:[0,0,1] neg_hi:[0,0,1]
	v_pk_fma_f32 v[2:3], v[12:13], v[108:109], v[2:3] op_sel:[0,0,1] op_sel_hi:[1,0,0]
	v_mov_b32_e32 v12, v111
	v_mov_b32_e32 v147, v3
	s_waitcnt lgkmcnt(0)
	v_pk_mul_f32 v[2:3], v[8:9], v[12:13] op_sel_hi:[1,0]
	v_accvgpr_write_b32 a152, v111
	v_pk_fma_f32 v[148:149], v[8:9], v[110:111], v[2:3] op_sel:[0,0,1] op_sel_hi:[1,1,0] neg_lo:[0,0,1] neg_hi:[0,0,1]
	v_pk_fma_f32 v[2:3], v[8:9], v[110:111], v[2:3] op_sel:[0,0,1] op_sel_hi:[1,0,0]
	s_waitcnt vmcnt(6)
	v_accvgpr_write_b32 a166, v91
	v_mov_b32_e32 v149, v3
	v_pk_add_f32 v[2:3], v[4:5], v[146:147]
	v_accvgpr_write_b32 a168, v87
	v_pk_add_f32 v[142:143], v[2:3], v[148:149]
	v_mov_b32_e32 v2, 0x10e
	v_cndmask_b32_e32 v2, 0, v2, vcc
	v_add_lshl_u32 v111, v0, v2, 3
	v_mul_u32_u24_e32 v0, 0x10e, v1
	v_add_lshl_u32 v75, v0, v16, 3
	v_mad_legacy_u16 v0, v17, s3, v18
	v_lshlrev_b32_e32 v71, 3, v0
	v_mad_legacy_u16 v0, v19, s3, v20
	v_lshlrev_b32_e32 v67, 3, v0
	;; [unrolled: 2-line block ×6, first 2 shown]
	ds_read2_b64 v[120:123], v124 offset0:136 offset1:217
	ds_read2_b64 v[0:3], v248 offset0:50 offset1:131
	;; [unrolled: 1-line block ×3, first 2 shown]
	v_lshlrev_b32_e32 v27, 3, v51
	v_cmp_gt_u16_e32 vcc, 27, v56
	v_accvgpr_write_b32 a135, v27
	s_waitcnt vmcnt(3)
	v_accvgpr_write_b32 a160, v83
	v_accvgpr_write_b32 a97, v35
	;; [unrolled: 1-line block ×7, first 2 shown]
	s_waitcnt vmcnt(2)
	v_mov_b32_e32 v104, v47
	v_accvgpr_write_b32 a158, v47
	s_waitcnt vmcnt(1)
	v_accvgpr_write_b32 a156, v115
	s_waitcnt vmcnt(0) lgkmcnt(1)
	v_pk_mul_f32 v[8:9], v[2:3], v[116:117] op_sel:[0,1]
	s_nop 0
	v_pk_fma_f32 v[128:129], v[2:3], v[116:117], v[8:9] op_sel:[0,0,1] op_sel_hi:[1,1,0] neg_lo:[0,0,1] neg_hi:[0,0,1]
	v_pk_fma_f32 v[2:3], v[2:3], v[116:117], v[8:9] op_sel:[0,0,1] op_sel_hi:[1,0,0]
	v_mov_b32_e32 v8, v119
	v_mov_b32_e32 v129, v3
	s_waitcnt lgkmcnt(0)
	v_pk_mul_f32 v[2:3], v[18:19], v[8:9] op_sel_hi:[1,0]
	v_accvgpr_write_b32 a154, v119
	v_pk_fma_f32 v[52:53], v[18:19], v[118:119], v[2:3] op_sel:[0,0,1] op_sel_hi:[1,1,0] neg_lo:[0,0,1] neg_hi:[0,0,1]
	v_pk_fma_f32 v[2:3], v[18:19], v[118:119], v[2:3] op_sel:[0,0,1] op_sel_hi:[1,0,0]
	s_nop 0
	v_mov_b32_e32 v53, v3
	v_pk_add_f32 v[2:3], v[128:129], v[52:53]
	v_pk_add_f32 v[8:9], v[128:129], v[52:53] neg_lo:[0,1] neg_hi:[0,1]
	v_pk_fma_f32 v[2:3], v[2:3], 0.5, v[122:123] op_sel_hi:[1,0,1] neg_lo:[1,0,0] neg_hi:[1,0,0]
	v_pk_mul_f32 v[12:13], v[8:9], s[2:3] op_sel_hi:[1,0]
	s_nop 0
	v_pk_add_f32 v[8:9], v[2:3], v[12:13] op_sel:[0,1] op_sel_hi:[1,0] neg_lo:[0,1] neg_hi:[0,1]
	v_pk_add_f32 v[12:13], v[2:3], v[12:13] op_sel:[0,1] op_sel_hi:[1,0]
	v_pk_mul_f32 v[2:3], v[0:1], v[112:113] op_sel:[0,1]
	s_nop 0
	v_pk_fma_f32 v[130:131], v[0:1], v[112:113], v[2:3] op_sel:[0,0,1] op_sel_hi:[1,1,0] neg_lo:[0,0,1] neg_hi:[0,0,1]
	v_pk_fma_f32 v[0:1], v[0:1], v[112:113], v[2:3] op_sel:[0,0,1] op_sel_hi:[1,0,0]
	v_mov_b32_e32 v2, v115
	v_mov_b32_e32 v131, v1
	v_pk_mul_f32 v[0:1], v[16:17], v[2:3] op_sel_hi:[1,0]
	s_nop 0
	v_pk_fma_f32 v[136:137], v[16:17], v[114:115], v[0:1] op_sel:[0,0,1] op_sel_hi:[1,1,0] neg_lo:[0,0,1] neg_hi:[0,0,1]
	v_pk_fma_f32 v[0:1], v[16:17], v[114:115], v[0:1] op_sel:[0,0,1] op_sel_hi:[1,0,0]
	s_nop 0
	v_mov_b32_e32 v137, v1
	v_pk_add_f32 v[0:1], v[130:131], v[136:137]
	v_pk_add_f32 v[2:3], v[130:131], v[136:137] neg_lo:[0,1] neg_hi:[0,1]
	v_pk_fma_f32 v[0:1], v[0:1], 0.5, v[120:121] op_sel_hi:[1,0,1] neg_lo:[1,0,0] neg_hi:[1,0,0]
	v_pk_mul_f32 v[2:3], v[2:3], s[2:3] op_sel_hi:[1,0]
	s_nop 0
	v_pk_add_f32 v[132:133], v[0:1], v[2:3] op_sel:[0,1] op_sel_hi:[1,0] neg_lo:[0,1] neg_hi:[0,1]
	v_pk_add_f32 v[134:135], v[0:1], v[2:3] op_sel:[0,1] op_sel_hi:[1,0]
	ds_read2_b64 v[0:3], v251 offset0:102 offset1:183
	ds_read2_b64 v[16:19], v252 offset0:16 offset1:97
	;; [unrolled: 1-line block ×3, first 2 shown]
	s_waitcnt lgkmcnt(1)
	v_pk_mul_f32 v[138:139], v[18:19], v[44:45] op_sel:[0,1]
	s_nop 0
	v_pk_fma_f32 v[150:151], v[18:19], v[44:45], v[138:139] op_sel:[0,0,1] op_sel_hi:[1,1,0] neg_lo:[0,0,1] neg_hi:[0,0,1]
	v_pk_fma_f32 v[18:19], v[18:19], v[44:45], v[138:139] op_sel:[0,0,1] op_sel_hi:[1,0,0]
	s_nop 0
	v_mov_b32_e32 v151, v19
	s_waitcnt lgkmcnt(0)
	v_pk_mul_f32 v[18:19], v[22:23], v[104:105] op_sel_hi:[1,0]
	v_mov_b32_e32 v104, v99
	v_pk_fma_f32 v[144:145], v[22:23], v[46:47], v[18:19] op_sel:[0,0,1] op_sel_hi:[1,1,0] neg_lo:[0,0,1] neg_hi:[0,0,1]
	v_pk_fma_f32 v[18:19], v[22:23], v[46:47], v[18:19] op_sel:[0,0,1] op_sel_hi:[1,0,0]
	s_nop 0
	v_mov_b32_e32 v145, v19
	v_pk_add_f32 v[18:19], v[150:151], v[144:145]
	v_pk_add_f32 v[22:23], v[150:151], v[144:145] neg_lo:[0,1] neg_hi:[0,1]
	v_pk_fma_f32 v[18:19], v[18:19], 0.5, v[2:3] op_sel_hi:[1,0,1] neg_lo:[1,0,0] neg_hi:[1,0,0]
	v_pk_mul_f32 v[22:23], v[22:23], s[2:3] op_sel_hi:[1,0]
	s_nop 0
	v_pk_add_f32 v[138:139], v[18:19], v[22:23] op_sel:[0,1] op_sel_hi:[1,0] neg_lo:[0,1] neg_hi:[0,1]
	v_pk_add_f32 v[140:141], v[18:19], v[22:23] op_sel:[0,1] op_sel_hi:[1,0]
	v_pk_mul_f32 v[18:19], v[16:17], v[80:81] op_sel:[0,1]
	s_nop 0
	v_pk_fma_f32 v[152:153], v[16:17], v[80:81], v[18:19] op_sel:[0,0,1] op_sel_hi:[1,1,0] neg_lo:[0,0,1] neg_hi:[0,0,1]
	v_pk_fma_f32 v[16:17], v[16:17], v[80:81], v[18:19] op_sel:[0,0,1] op_sel_hi:[1,0,0]
	v_mov_b32_e32 v18, v83
	v_mov_b32_e32 v153, v17
	v_pk_mul_f32 v[16:17], v[20:21], v[18:19] op_sel_hi:[1,0]
	s_nop 0
	v_pk_fma_f32 v[158:159], v[20:21], v[82:83], v[16:17] op_sel:[0,0,1] op_sel_hi:[1,1,0] neg_lo:[0,0,1] neg_hi:[0,0,1]
	v_pk_fma_f32 v[16:17], v[20:21], v[82:83], v[16:17] op_sel:[0,0,1] op_sel_hi:[1,0,0]
	v_mov_b32_e32 v83, v31
	v_mov_b32_e32 v159, v17
	v_pk_add_f32 v[16:17], v[152:153], v[158:159]
	v_pk_add_f32 v[18:19], v[152:153], v[158:159] neg_lo:[0,1] neg_hi:[0,1]
	v_pk_fma_f32 v[16:17], v[16:17], 0.5, v[0:1] op_sel_hi:[1,0,1] neg_lo:[1,0,0] neg_hi:[1,0,0]
	v_pk_mul_f32 v[18:19], v[18:19], s[2:3] op_sel_hi:[1,0]
	v_pk_add_f32 v[0:1], v[0:1], v[152:153]
	v_pk_add_f32 v[154:155], v[16:17], v[18:19] op_sel:[0,1] op_sel_hi:[1,0] neg_lo:[0,1] neg_hi:[0,1]
	v_pk_add_f32 v[156:157], v[16:17], v[18:19] op_sel:[0,1] op_sel_hi:[1,0]
	ds_read2_b64 v[16:19], v163 offset0:68 offset1:149
	ds_read2_b64 v[20:23], v165 offset0:110 offset1:191
	ds_read2_b64 v[180:183], v127 offset0:152 offset1:233
	v_pk_add_f32 v[0:1], v[0:1], v[158:159]
	s_waitcnt lgkmcnt(1)
	v_pk_mul_f32 v[170:171], v[22:23], v[96:97] op_sel:[0,1]
	s_nop 0
	v_pk_fma_f32 v[176:177], v[22:23], v[96:97], v[170:171] op_sel:[0,0,1] op_sel_hi:[1,1,0] neg_lo:[0,0,1] neg_hi:[0,0,1]
	v_pk_fma_f32 v[22:23], v[22:23], v[96:97], v[170:171] op_sel:[0,0,1] op_sel_hi:[1,0,0]
	s_nop 0
	v_mov_b32_e32 v177, v23
	s_waitcnt lgkmcnt(0)
	v_pk_mul_f32 v[22:23], v[182:183], v[104:105] op_sel_hi:[1,0]
	v_mov_b32_e32 v104, v91
	v_pk_fma_f32 v[174:175], v[182:183], v[98:99], v[22:23] op_sel:[0,0,1] op_sel_hi:[1,1,0] neg_lo:[0,0,1] neg_hi:[0,0,1]
	v_pk_fma_f32 v[22:23], v[182:183], v[98:99], v[22:23] op_sel:[0,0,1] op_sel_hi:[1,0,0]
	s_nop 0
	v_mov_b32_e32 v175, v23
	v_pk_add_f32 v[22:23], v[176:177], v[174:175]
	v_pk_add_f32 v[170:171], v[176:177], v[174:175] neg_lo:[0,1] neg_hi:[0,1]
	v_pk_fma_f32 v[22:23], v[22:23], 0.5, v[18:19] op_sel_hi:[1,0,1] neg_lo:[1,0,0] neg_hi:[1,0,0]
	v_pk_mul_f32 v[172:173], v[170:171], s[2:3] op_sel_hi:[1,0]
	s_nop 0
	v_pk_add_f32 v[170:171], v[22:23], v[172:173] op_sel:[0,1] op_sel_hi:[1,0] neg_lo:[0,1] neg_hi:[0,1]
	v_pk_add_f32 v[172:173], v[22:23], v[172:173] op_sel:[0,1] op_sel_hi:[1,0]
	v_pk_mul_f32 v[22:23], v[20:21], v[92:93] op_sel:[0,1]
	s_nop 0
	v_pk_fma_f32 v[178:179], v[20:21], v[92:93], v[22:23] op_sel:[0,0,1] op_sel_hi:[1,1,0] neg_lo:[0,0,1] neg_hi:[0,0,1]
	v_pk_fma_f32 v[20:21], v[20:21], v[92:93], v[22:23] op_sel:[0,0,1] op_sel_hi:[1,0,0]
	v_mov_b32_e32 v22, v95
	v_mov_b32_e32 v179, v21
	v_pk_mul_f32 v[20:21], v[180:181], v[22:23] op_sel_hi:[1,0]
	s_nop 0
	v_pk_fma_f32 v[184:185], v[180:181], v[94:95], v[20:21] op_sel:[0,0,1] op_sel_hi:[1,1,0] neg_lo:[0,0,1] neg_hi:[0,0,1]
	v_pk_fma_f32 v[20:21], v[180:181], v[94:95], v[20:21] op_sel:[0,0,1] op_sel_hi:[1,0,0]
	s_nop 0
	v_mov_b32_e32 v185, v21
	v_pk_add_f32 v[20:21], v[178:179], v[184:185]
	v_pk_add_f32 v[22:23], v[178:179], v[184:185] neg_lo:[0,1] neg_hi:[0,1]
	v_pk_fma_f32 v[20:21], v[20:21], 0.5, v[16:17] op_sel_hi:[1,0,1] neg_lo:[1,0,0] neg_hi:[1,0,0]
	v_pk_mul_f32 v[22:23], v[22:23], s[2:3] op_sel_hi:[1,0]
	s_nop 0
	v_pk_add_f32 v[180:181], v[20:21], v[22:23] op_sel:[0,1] op_sel_hi:[1,0] neg_lo:[0,1] neg_hi:[0,1]
	v_pk_add_f32 v[182:183], v[20:21], v[22:23] op_sel:[0,1] op_sel_hi:[1,0]
	ds_read2_b64 v[20:23], v160 offset0:162 offset1:243
	ds_read2_b64 v[194:197], v249 offset0:76 offset1:157
	;; [unrolled: 1-line block ×3, first 2 shown]
	s_waitcnt lgkmcnt(0)
	s_barrier
	v_pk_mul_f32 v[186:187], v[196:197], v[88:89] op_sel:[0,1]
	s_nop 0
	v_pk_fma_f32 v[192:193], v[196:197], v[88:89], v[186:187] op_sel:[0,0,1] op_sel_hi:[1,1,0] neg_lo:[0,0,1] neg_hi:[0,0,1]
	v_pk_fma_f32 v[186:187], v[196:197], v[88:89], v[186:187] op_sel:[0,0,1] op_sel_hi:[1,0,0]
	s_nop 0
	v_mov_b32_e32 v193, v187
	v_pk_mul_f32 v[186:187], v[212:213], v[104:105] op_sel_hi:[1,0]
	v_mov_b32_e32 v104, v87
	v_pk_fma_f32 v[190:191], v[212:213], v[90:91], v[186:187] op_sel:[0,0,1] op_sel_hi:[1,1,0] neg_lo:[0,0,1] neg_hi:[0,0,1]
	v_pk_fma_f32 v[186:187], v[212:213], v[90:91], v[186:187] op_sel:[0,0,1] op_sel_hi:[1,0,0]
	v_mov_b32_e32 v91, v254
	v_mov_b32_e32 v191, v187
	v_pk_add_f32 v[186:187], v[192:193], v[190:191]
	s_nop 0
	v_pk_fma_f32 v[188:189], v[186:187], 0.5, v[22:23] op_sel_hi:[1,0,1] neg_lo:[1,0,0] neg_hi:[1,0,0]
	v_pk_add_f32 v[186:187], v[192:193], v[190:191] neg_lo:[0,1] neg_hi:[0,1]
	s_nop 0
	v_pk_mul_f32 v[196:197], v[186:187], s[2:3] op_sel_hi:[1,0]
	s_nop 0
	v_pk_add_f32 v[186:187], v[188:189], v[196:197] op_sel:[0,1] op_sel_hi:[1,0] neg_lo:[0,1] neg_hi:[0,1]
	v_pk_add_f32 v[188:189], v[188:189], v[196:197] op_sel:[0,1] op_sel_hi:[1,0]
	v_pk_mul_f32 v[196:197], v[194:195], v[84:85] op_sel:[0,1]
	s_nop 0
	v_pk_fma_f32 v[198:199], v[194:195], v[84:85], v[196:197] op_sel:[0,0,1] op_sel_hi:[1,1,0] neg_lo:[0,0,1] neg_hi:[0,0,1]
	v_pk_fma_f32 v[194:195], v[194:195], v[84:85], v[196:197] op_sel:[0,0,1] op_sel_hi:[1,0,0]
	s_nop 0
	v_mov_b32_e32 v199, v195
	v_pk_mul_f32 v[194:195], v[210:211], v[104:105] op_sel_hi:[1,0]
	v_mov_b32_e32 v104, v103
	v_pk_fma_f32 v[196:197], v[210:211], v[86:87], v[194:195] op_sel:[0,0,1] op_sel_hi:[1,1,0] neg_lo:[0,0,1] neg_hi:[0,0,1]
	v_pk_fma_f32 v[194:195], v[210:211], v[86:87], v[194:195] op_sel:[0,0,1] op_sel_hi:[1,0,0]
	v_pk_fma_f32 v[210:211], v[14:15], v[100:101], v[206:207] op_sel:[0,0,1] op_sel_hi:[1,1,0] neg_lo:[0,0,1] neg_hi:[0,0,1]
	v_pk_fma_f32 v[14:15], v[14:15], v[100:101], v[206:207] op_sel:[0,0,1] op_sel_hi:[1,0,0]
	v_mov_b32_e32 v197, v195
	v_mov_b32_e32 v211, v15
	v_pk_mul_f32 v[14:15], v[10:11], v[104:105] op_sel_hi:[1,0]
	v_pk_add_f32 v[194:195], v[20:21], v[198:199]
	v_pk_fma_f32 v[206:207], v[10:11], v[102:103], v[14:15] op_sel:[0,0,1] op_sel_hi:[1,1,0] neg_lo:[0,0,1] neg_hi:[0,0,1]
	v_pk_fma_f32 v[10:11], v[10:11], v[102:103], v[14:15] op_sel:[0,0,1] op_sel_hi:[1,0,0]
	v_pk_add_f32 v[14:15], v[146:147], v[148:149]
	v_mov_b32_e32 v207, v11
	v_pk_fma_f32 v[4:5], v[14:15], 0.5, v[4:5] op_sel_hi:[1,0,1] neg_lo:[1,0,0] neg_hi:[1,0,0]
	v_pk_add_f32 v[14:15], v[146:147], v[148:149] neg_lo:[0,1] neg_hi:[0,1]
	v_pk_add_f32 v[10:11], v[6:7], v[210:211]
	v_pk_mul_f32 v[14:15], v[14:15], s[2:3] op_sel_hi:[1,0]
	v_pk_add_f32 v[10:11], v[10:11], v[206:207]
	v_pk_add_f32 v[146:147], v[4:5], v[14:15] op_sel:[0,1] op_sel_hi:[1,0] neg_lo:[0,1] neg_hi:[0,1]
	v_pk_add_f32 v[4:5], v[4:5], v[14:15] op_sel:[0,1] op_sel_hi:[1,0]
	v_mov_b32_e32 v15, v147
	v_mov_b32_e32 v14, v4
	;; [unrolled: 1-line block ×3, first 2 shown]
	v_pk_add_f32 v[4:5], v[210:211], v[206:207]
	ds_write2_b64 v160, v[142:143], v[14:15] offset1:90
	v_pk_fma_f32 v[4:5], v[4:5], 0.5, v[6:7] op_sel_hi:[1,0,1] neg_lo:[1,0,0] neg_hi:[1,0,0]
	v_pk_add_f32 v[6:7], v[210:211], v[206:207] neg_lo:[0,1] neg_hi:[0,1]
	ds_write_b64 v160, v[146:147] offset:1440
	v_pk_mul_f32 v[6:7], v[6:7], s[2:3] op_sel_hi:[1,0]
	v_pk_add_f32 v[194:195], v[194:195], v[196:197]
	v_pk_add_f32 v[14:15], v[4:5], v[6:7] op_sel:[0,1] op_sel_hi:[1,0]
	v_pk_add_f32 v[4:5], v[4:5], v[6:7] op_sel:[0,1] op_sel_hi:[1,0] neg_lo:[0,1] neg_hi:[0,1]
	v_mov_b32_e32 v6, v14
	v_mov_b32_e32 v7, v5
	;; [unrolled: 1-line block ×3, first 2 shown]
	ds_write2_b64 v111, v[10:11], v[6:7] offset1:90
	ds_write_b64 v111, v[4:5] offset:1440
	v_pk_add_f32 v[4:5], v[198:199], v[196:197]
	v_pk_add_f32 v[6:7], v[198:199], v[196:197] neg_lo:[0,1] neg_hi:[0,1]
	v_pk_fma_f32 v[4:5], v[4:5], 0.5, v[20:21] op_sel_hi:[1,0,1] neg_lo:[1,0,0] neg_hi:[1,0,0]
	v_pk_mul_f32 v[6:7], v[6:7], s[2:3] op_sel_hi:[1,0]
	s_movk_i32 s3, 0x795d
	v_pk_add_f32 v[10:11], v[4:5], v[6:7] op_sel:[0,1] op_sel_hi:[1,0]
	v_pk_add_f32 v[4:5], v[4:5], v[6:7] op_sel:[0,1] op_sel_hi:[1,0] neg_lo:[0,1] neg_hi:[0,1]
	v_mov_b32_e32 v6, v10
	v_mov_b32_e32 v7, v5
	;; [unrolled: 1-line block ×3, first 2 shown]
	ds_write_b64 v75, v[4:5] offset:1440
	v_pk_add_f32 v[4:5], v[22:23], v[192:193]
	ds_write2_b64 v75, v[194:195], v[6:7] offset1:90
	v_pk_add_f32 v[4:5], v[4:5], v[190:191]
	v_mov_b32_e32 v6, v188
	v_mov_b32_e32 v7, v187
	ds_write2_b64 v71, v[4:5], v[6:7] offset1:90
	v_pk_add_f32 v[4:5], v[16:17], v[178:179]
	v_mov_b32_e32 v187, v189
	v_pk_add_f32 v[4:5], v[4:5], v[184:185]
	v_mov_b32_e32 v6, v182
	v_mov_b32_e32 v7, v181
	ds_write_b64 v71, v[186:187] offset:1440
	ds_write2_b64 v67, v[4:5], v[6:7] offset1:90
	v_pk_add_f32 v[4:5], v[18:19], v[176:177]
	v_mov_b32_e32 v181, v183
	v_pk_add_f32 v[4:5], v[4:5], v[174:175]
	v_mov_b32_e32 v6, v172
	v_mov_b32_e32 v7, v171
	ds_write_b64 v67, v[180:181] offset:1440
	ds_write2_b64 v63, v[4:5], v[6:7] offset1:90
	v_mov_b32_e32 v171, v173
	v_mov_b32_e32 v4, v156
	;; [unrolled: 1-line block ×3, first 2 shown]
	ds_write_b64 v63, v[170:171] offset:1440
	ds_write2_b64 v55, v[0:1], v[4:5] offset1:90
	v_pk_add_f32 v[0:1], v[2:3], v[150:151]
	v_mov_b32_e32 v155, v157
	v_pk_add_f32 v[0:1], v[0:1], v[144:145]
	v_mov_b32_e32 v2, v140
	v_mov_b32_e32 v3, v139
	ds_write_b64 v55, v[154:155] offset:1440
	ds_write2_b64 v35, v[0:1], v[2:3] offset1:90
	v_pk_add_f32 v[0:1], v[120:121], v[130:131]
	v_mov_b32_e32 v139, v141
	v_pk_add_f32 v[0:1], v[0:1], v[136:137]
	v_mov_b32_e32 v2, v134
	v_mov_b32_e32 v3, v133
	;; [unrolled: 7-line block ×3, first 2 shown]
	v_add_u32_e32 v4, 0x4000, v27
	ds_write_b64 v31, v[132:133] offset:1440
	ds_write2_b64 v4, v[0:1], v[2:3] offset0:112 offset1:202
	v_mov_b32_e32 v9, v13
	v_lshlrev_b32_e32 v0, 4, v54
	v_mov_b32_e32 v1, v161
	ds_write_b64 v27, v[8:9] offset:18720
	s_waitcnt lgkmcnt(0)
	s_barrier
	global_load_dwordx4 v[156:159], v26, s[6:7] offset:2080
	global_load_dwordx4 v[152:155], v0, s[6:7] offset:2080
	v_lshl_add_u64 v[52:53], s[6:7], 0, v[0:1]
	v_lshlrev_b32_e32 v0, 4, v126
	v_lshl_add_u64 v[170:171], s[6:7], 0, v[0:1]
	global_load_dwordx4 v[148:151], v0, s[6:7] offset:2080
	v_lshl_add_u64 v[0:1], v[56:57], 0, s[18:19]
	v_cndmask_b32_e32 v1, v1, v59, vcc
	v_cndmask_b32_e32 v0, v0, v58, vcc
	v_lshl_add_u64 v[2:3], v[0:1], 4, s[6:7]
	v_mul_u32_u24_sdwa v1, v162, s3 dst_sel:DWORD dst_unused:UNUSED_PAD src0_sel:WORD_0 src1_sel:DWORD
	v_lshrrev_b32_e32 v1, 23, v1
	global_load_dwordx4 v[120:123], v[2:3], off offset:2080
	global_load_dwordx4 v[104:107], v26, s[6:7] offset:2944
	v_mul_lo_u16_e32 v2, 0x10e, v1
	v_sub_u16_e32 v22, v162, v2
	v_add_co_u32_e32 v26, vcc, s11, v24
	v_lshlrev_b16_e32 v2, 4, v22
	v_mov_b32_e32 v3, v161
	v_addc_co_u32_e32 v27, vcc, 0, v25, vcc
	v_lshl_add_u64 v[2:3], s[6:7], 0, v[2:3]
	global_load_dwordx4 v[128:131], v[26:27], off offset:144
	global_load_dwordx4 v[132:135], v[2:3], off offset:2080
	v_mul_u32_u24_sdwa v2, v164, s3 dst_sel:DWORD dst_unused:UNUSED_PAD src0_sel:WORD_0 src1_sel:DWORD
	v_lshrrev_b32_e32 v2, 23, v2
	v_mul_lo_u16_e32 v2, 0x10e, v2
	v_sub_u16_e32 v23, v164, v2
	v_lshlrev_b16_e32 v2, 4, v23
	v_mov_b32_e32 v3, v161
	v_lshl_add_u64 v[2:3], s[6:7], 0, v[2:3]
	global_load_dwordx4 v[136:139], v[2:3], off offset:2080
	v_mul_u32_u24_sdwa v2, v204, s3 dst_sel:DWORD dst_unused:UNUSED_PAD src0_sel:WORD_0 src1_sel:DWORD
	v_lshrrev_b32_e32 v2, 23, v2
	v_mul_lo_u16_e32 v2, 0x10e, v2
	v_sub_u16_e32 v24, v204, v2
	v_lshlrev_b16_e32 v2, 4, v24
	v_mov_b32_e32 v3, v161
	v_lshl_add_u64 v[2:3], s[6:7], 0, v[2:3]
	;; [unrolled: 8-line block ×3, first 2 shown]
	global_load_dwordx4 v[144:147], v[2:3], off offset:2080
	v_accvgpr_write_b32 a137, v4
	ds_read2_b64 v[4:7], v160 offset1:81
	ds_read2_b64 v[8:11], v254 offset0:42 offset1:123
	ds_read2_b64 v[12:15], v125 offset0:84 offset1:165
	v_cmp_lt_u16_e32 vcc, 26, v56
	v_lshlrev_b32_e32 v57, 3, v25
	v_mov_b32_e32 v31, v127
	v_mov_b32_e32 v87, v255
	s_mov_b32 s18, s4
	s_mov_b32 s19, s10
	s_waitcnt vmcnt(9) lgkmcnt(1)
	v_pk_mul_f32 v[2:3], v[8:9], v[156:157] op_sel:[0,1]
	s_nop 0
	v_pk_fma_f32 v[182:183], v[8:9], v[156:157], v[2:3] op_sel:[0,0,1] op_sel_hi:[1,1,0] neg_lo:[0,0,1] neg_hi:[0,0,1]
	v_pk_fma_f32 v[2:3], v[8:9], v[156:157], v[2:3] op_sel:[0,0,1] op_sel_hi:[1,0,0]
	v_mov_b32_e32 v8, v159
	v_mov_b32_e32 v183, v3
	s_waitcnt lgkmcnt(0)
	v_pk_mul_f32 v[2:3], v[12:13], v[8:9] op_sel_hi:[1,0]
	s_waitcnt vmcnt(8)
	v_mov_b32_e32 v8, v155
	v_pk_fma_f32 v[186:187], v[12:13], v[158:159], v[2:3] op_sel:[0,0,1] op_sel_hi:[1,1,0] neg_lo:[0,0,1] neg_hi:[0,0,1]
	v_pk_fma_f32 v[2:3], v[12:13], v[158:159], v[2:3] op_sel:[0,0,1] op_sel_hi:[1,0,0]
	s_waitcnt vmcnt(7)
	v_mov_b32_e32 v12, v151
	v_mov_b32_e32 v187, v3
	v_pk_add_f32 v[2:3], v[4:5], v[182:183]
	v_accvgpr_write_b32 a180, v155
	v_pk_add_f32 v[178:179], v[2:3], v[186:187]
	v_pk_mul_f32 v[2:3], v[10:11], v[152:153] op_sel:[0,1]
	v_accvgpr_write_b32 a178, v151
	v_pk_fma_f32 v[180:181], v[10:11], v[152:153], v[2:3] op_sel:[0,0,1] op_sel_hi:[1,1,0] neg_lo:[0,0,1] neg_hi:[0,0,1]
	v_pk_fma_f32 v[2:3], v[10:11], v[152:153], v[2:3] op_sel:[0,0,1] op_sel_hi:[1,0,0]
	v_accvgpr_write_b32 a176, v159
	v_mov_b32_e32 v181, v3
	v_pk_mul_f32 v[2:3], v[14:15], v[8:9] op_sel_hi:[1,0]
	v_mov_b32_e32 v159, v251
	v_pk_fma_f32 v[192:193], v[14:15], v[154:155], v[2:3] op_sel:[0,0,1] op_sel_hi:[1,1,0] neg_lo:[0,0,1] neg_hi:[0,0,1]
	v_pk_fma_f32 v[2:3], v[14:15], v[154:155], v[2:3] op_sel:[0,0,1] op_sel_hi:[1,0,0]
	ds_read2_b64 v[8:11], v160 offset0:162 offset1:243
	ds_read2_b64 v[18:21], v249 offset0:76 offset1:157
	;; [unrolled: 1-line block ×3, first 2 shown]
	v_mov_b32_e32 v193, v3
	v_pk_add_f32 v[2:3], v[6:7], v[180:181]
	v_lshlrev_b32_e32 v155, 3, v23
	v_pk_add_f32 v[194:195], v[2:3], v[192:193]
	s_waitcnt lgkmcnt(1)
	v_pk_mul_f32 v[2:3], v[18:19], v[148:149] op_sel:[0,1]
	s_waitcnt vmcnt(4)
	v_accvgpr_write_b32 a190, v131
	v_pk_fma_f32 v[184:185], v[18:19], v[148:149], v[2:3] op_sel:[0,0,1] op_sel_hi:[1,1,0] neg_lo:[0,0,1] neg_hi:[0,0,1]
	v_pk_fma_f32 v[2:3], v[18:19], v[148:149], v[2:3] op_sel:[0,0,1] op_sel_hi:[1,0,0]
	s_waitcnt vmcnt(2)
	v_mov_b32_e32 v54, v139
	v_mov_b32_e32 v185, v3
	s_waitcnt lgkmcnt(0)
	v_pk_mul_f32 v[2:3], v[14:15], v[12:13] op_sel_hi:[1,0]
	v_accvgpr_write_b32 a186, v139
	v_pk_fma_f32 v[188:189], v[14:15], v[150:151], v[2:3] op_sel:[0,0,1] op_sel_hi:[1,1,0] neg_lo:[0,0,1] neg_hi:[0,0,1]
	v_pk_fma_f32 v[2:3], v[14:15], v[150:151], v[2:3] op_sel:[0,0,1] op_sel_hi:[1,0,0]
	v_lshlrev_b32_e32 v151, 3, v24
	v_mov_b32_e32 v189, v3
	v_pk_add_f32 v[2:3], v[8:9], v[184:185]
	s_waitcnt vmcnt(1)
	v_accvgpr_write_b32 a184, v143
	v_pk_add_f32 v[190:191], v[2:3], v[188:189]
	v_mov_b32_e32 v2, 0x32a
	v_cndmask_b32_e32 v2, 0, v2, vcc
	v_add_lshl_u32 v119, v0, v2, 3
	v_mad_legacy_u16 v0, v1, s20, v22
	v_lshlrev_b32_e32 v115, 3, v0
	ds_read2_b64 v[0:3], v124 offset0:136 offset1:217
	ds_read2_b64 v[12:15], v248 offset0:50 offset1:131
	;; [unrolled: 1-line block ×3, first 2 shown]
	s_waitcnt vmcnt(0)
	v_accvgpr_write_b32 a182, v147
	v_accvgpr_write_b32 a192, v107
	;; [unrolled: 1-line block ×3, first 2 shown]
	s_waitcnt lgkmcnt(1)
	v_pk_mul_f32 v[18:19], v[14:15], v[144:145] op_sel:[0,1]
	v_accvgpr_write_b32 a188, v135
	v_pk_fma_f32 v[176:177], v[14:15], v[144:145], v[18:19] op_sel:[0,0,1] op_sel_hi:[1,1,0] neg_lo:[0,0,1] neg_hi:[0,0,1]
	v_pk_fma_f32 v[14:15], v[14:15], v[144:145], v[18:19] op_sel:[0,0,1] op_sel_hi:[1,0,0]
	v_mov_b32_e32 v18, v147
	v_mov_b32_e32 v177, v15
	s_waitcnt lgkmcnt(0)
	v_pk_mul_f32 v[14:15], v[24:25], v[18:19] op_sel_hi:[1,0]
	s_nop 0
	v_pk_fma_f32 v[174:175], v[24:25], v[146:147], v[14:15] op_sel:[0,0,1] op_sel_hi:[1,1,0] neg_lo:[0,0,1] neg_hi:[0,0,1]
	v_pk_fma_f32 v[14:15], v[24:25], v[146:147], v[14:15] op_sel:[0,0,1] op_sel_hi:[1,0,0]
	v_mov_b32_e32 v147, v250
	v_mov_b32_e32 v175, v15
	v_pk_add_f32 v[14:15], v[176:177], v[174:175]
	v_pk_add_f32 v[18:19], v[176:177], v[174:175] neg_lo:[0,1] neg_hi:[0,1]
	v_pk_fma_f32 v[14:15], v[14:15], 0.5, v[2:3] op_sel_hi:[1,0,1] neg_lo:[1,0,0] neg_hi:[1,0,0]
	v_pk_mul_f32 v[24:25], v[18:19], s[2:3] op_sel_hi:[1,0]
	s_nop 0
	v_pk_add_f32 v[18:19], v[14:15], v[24:25] op_sel:[0,1] op_sel_hi:[1,0] neg_lo:[0,1] neg_hi:[0,1]
	v_pk_add_f32 v[172:173], v[14:15], v[24:25] op_sel:[0,1] op_sel_hi:[1,0]
	v_pk_mul_f32 v[14:15], v[12:13], v[140:141] op_sel:[0,1]
	s_nop 0
	v_pk_fma_f32 v[196:197], v[12:13], v[140:141], v[14:15] op_sel:[0,0,1] op_sel_hi:[1,1,0] neg_lo:[0,0,1] neg_hi:[0,0,1]
	v_pk_fma_f32 v[12:13], v[12:13], v[140:141], v[14:15] op_sel:[0,0,1] op_sel_hi:[1,0,0]
	v_mov_b32_e32 v14, v143
	v_mov_b32_e32 v197, v13
	v_pk_mul_f32 v[12:13], v[22:23], v[14:15] op_sel_hi:[1,0]
	s_nop 0
	v_pk_fma_f32 v[198:199], v[22:23], v[142:143], v[12:13] op_sel:[0,0,1] op_sel_hi:[1,1,0] neg_lo:[0,0,1] neg_hi:[0,0,1]
	v_pk_fma_f32 v[12:13], v[22:23], v[142:143], v[12:13] op_sel:[0,0,1] op_sel_hi:[1,0,0]
	v_mov_b32_e32 v143, v249
	v_mov_b32_e32 v199, v13
	v_pk_add_f32 v[12:13], v[196:197], v[198:199]
	v_pk_add_f32 v[14:15], v[196:197], v[198:199] neg_lo:[0,1] neg_hi:[0,1]
	v_pk_fma_f32 v[12:13], v[12:13], 0.5, v[0:1] op_sel_hi:[1,0,1] neg_lo:[1,0,0] neg_hi:[1,0,0]
	v_pk_mul_f32 v[14:15], v[14:15], s[2:3] op_sel_hi:[1,0]
	v_pk_add_f32 v[0:1], v[0:1], v[196:197]
	v_pk_add_f32 v[206:207], v[12:13], v[14:15] op_sel:[0,1] op_sel_hi:[1,0] neg_lo:[0,1] neg_hi:[0,1]
	v_pk_add_f32 v[210:211], v[12:13], v[14:15] op_sel:[0,1] op_sel_hi:[1,0]
	ds_read2_b64 v[12:15], v251 offset0:102 offset1:183
	ds_read2_b64 v[22:25], v252 offset0:16 offset1:97
	;; [unrolled: 1-line block ×3, first 2 shown]
	v_pk_add_f32 v[0:1], v[0:1], v[198:199]
	s_waitcnt lgkmcnt(1)
	v_pk_mul_f32 v[214:215], v[24:25], v[136:137] op_sel:[0,1]
	s_nop 0
	v_pk_fma_f32 v[212:213], v[24:25], v[136:137], v[214:215] op_sel:[0,0,1] op_sel_hi:[1,1,0] neg_lo:[0,0,1] neg_hi:[0,0,1]
	v_pk_fma_f32 v[24:25], v[24:25], v[136:137], v[214:215] op_sel:[0,0,1] op_sel_hi:[1,0,0]
	s_nop 0
	v_mov_b32_e32 v213, v25
	s_waitcnt lgkmcnt(0)
	v_pk_mul_f32 v[24:25], v[226:227], v[54:55] op_sel_hi:[1,0]
	v_mov_b32_e32 v54, v131
	v_pk_fma_f32 v[214:215], v[226:227], v[138:139], v[24:25] op_sel:[0,0,1] op_sel_hi:[1,1,0] neg_lo:[0,0,1] neg_hi:[0,0,1]
	v_pk_fma_f32 v[24:25], v[226:227], v[138:139], v[24:25] op_sel:[0,0,1] op_sel_hi:[1,0,0]
	v_mov_b32_e32 v139, v248
	v_mov_b32_e32 v215, v25
	v_pk_add_f32 v[24:25], v[212:213], v[214:215]
	v_pk_add_f32 v[216:217], v[212:213], v[214:215] neg_lo:[0,1] neg_hi:[0,1]
	v_pk_fma_f32 v[24:25], v[24:25], 0.5, v[14:15] op_sel_hi:[1,0,1] neg_lo:[1,0,0] neg_hi:[1,0,0]
	v_pk_mul_f32 v[218:219], v[216:217], s[2:3] op_sel_hi:[1,0]
	s_nop 0
	v_pk_add_f32 v[216:217], v[24:25], v[218:219] op_sel:[0,1] op_sel_hi:[1,0] neg_lo:[0,1] neg_hi:[0,1]
	v_pk_add_f32 v[218:219], v[24:25], v[218:219] op_sel:[0,1] op_sel_hi:[1,0]
	v_pk_mul_f32 v[24:25], v[22:23], v[132:133] op_sel:[0,1]
	s_nop 0
	v_pk_fma_f32 v[220:221], v[22:23], v[132:133], v[24:25] op_sel:[0,0,1] op_sel_hi:[1,1,0] neg_lo:[0,0,1] neg_hi:[0,0,1]
	v_pk_fma_f32 v[22:23], v[22:23], v[132:133], v[24:25] op_sel:[0,0,1] op_sel_hi:[1,0,0]
	v_mov_b32_e32 v24, v135
	v_mov_b32_e32 v221, v23
	v_pk_mul_f32 v[22:23], v[224:225], v[24:25] op_sel_hi:[1,0]
	s_nop 0
	v_pk_fma_f32 v[222:223], v[224:225], v[134:135], v[22:23] op_sel:[0,0,1] op_sel_hi:[1,1,0] neg_lo:[0,0,1] neg_hi:[0,0,1]
	v_pk_fma_f32 v[22:23], v[224:225], v[134:135], v[22:23] op_sel:[0,0,1] op_sel_hi:[1,0,0]
	v_mov_b32_e32 v135, v163
	v_mov_b32_e32 v223, v23
	v_pk_add_f32 v[22:23], v[220:221], v[222:223]
	v_pk_add_f32 v[24:25], v[220:221], v[222:223] neg_lo:[0,1] neg_hi:[0,1]
	v_pk_fma_f32 v[22:23], v[22:23], 0.5, v[12:13] op_sel_hi:[1,0,1] neg_lo:[1,0,0] neg_hi:[1,0,0]
	v_pk_mul_f32 v[24:25], v[24:25], s[2:3] op_sel_hi:[1,0]
	s_nop 0
	v_pk_add_f32 v[224:225], v[22:23], v[24:25] op_sel:[0,1] op_sel_hi:[1,0] neg_lo:[0,1] neg_hi:[0,1]
	v_pk_add_f32 v[226:227], v[22:23], v[24:25] op_sel:[0,1] op_sel_hi:[1,0]
	ds_read2_b64 v[22:25], v163 offset0:68 offset1:149
	ds_read2_b64 v[236:239], v165 offset0:110 offset1:191
	;; [unrolled: 1-line block ×3, first 2 shown]
	s_waitcnt lgkmcnt(0)
	s_barrier
	v_pk_mul_f32 v[228:229], v[238:239], v[128:129] op_sel:[0,1]
	v_pk_mul_f32 v[240:241], v[236:237], v[104:105] op_sel:[0,1]
	v_pk_fma_f32 v[232:233], v[238:239], v[128:129], v[228:229] op_sel:[0,0,1] op_sel_hi:[1,1,0] neg_lo:[0,0,1] neg_hi:[0,0,1]
	v_pk_fma_f32 v[228:229], v[238:239], v[128:129], v[228:229] op_sel:[0,0,1] op_sel_hi:[1,0,0]
	s_nop 0
	v_mov_b32_e32 v233, v229
	v_pk_mul_f32 v[228:229], v[244:245], v[54:55] op_sel_hi:[1,0]
	v_mov_b32_e32 v54, v107
	v_pk_fma_f32 v[234:235], v[244:245], v[130:131], v[228:229] op_sel:[0,0,1] op_sel_hi:[1,1,0] neg_lo:[0,0,1] neg_hi:[0,0,1]
	v_pk_fma_f32 v[228:229], v[244:245], v[130:131], v[228:229] op_sel:[0,0,1] op_sel_hi:[1,0,0]
	v_mov_b32_e32 v131, v165
	v_mov_b32_e32 v235, v229
	v_pk_add_f32 v[228:229], v[232:233], v[234:235]
	s_nop 0
	v_pk_fma_f32 v[230:231], v[228:229], 0.5, v[24:25] op_sel_hi:[1,0,1] neg_lo:[1,0,0] neg_hi:[1,0,0]
	v_pk_add_f32 v[228:229], v[232:233], v[234:235] neg_lo:[0,1] neg_hi:[0,1]
	s_nop 0
	v_pk_mul_f32 v[238:239], v[228:229], s[2:3] op_sel_hi:[1,0]
	s_nop 0
	v_pk_add_f32 v[228:229], v[230:231], v[238:239] op_sel:[0,1] op_sel_hi:[1,0] neg_lo:[0,1] neg_hi:[0,1]
	v_pk_add_f32 v[230:231], v[230:231], v[238:239] op_sel:[0,1] op_sel_hi:[1,0]
	v_pk_fma_f32 v[238:239], v[236:237], v[104:105], v[240:241] op_sel:[0,0,1] op_sel_hi:[1,1,0] neg_lo:[0,0,1] neg_hi:[0,0,1]
	v_pk_fma_f32 v[236:237], v[236:237], v[104:105], v[240:241] op_sel:[0,0,1] op_sel_hi:[1,0,0]
	s_nop 0
	v_mov_b32_e32 v239, v237
	v_pk_mul_f32 v[236:237], v[242:243], v[54:55] op_sel_hi:[1,0]
	v_mov_b32_e32 v54, v123
	v_pk_fma_f32 v[240:241], v[242:243], v[106:107], v[236:237] op_sel:[0,0,1] op_sel_hi:[1,1,0] neg_lo:[0,0,1] neg_hi:[0,0,1]
	v_pk_fma_f32 v[236:237], v[242:243], v[106:107], v[236:237] op_sel:[0,0,1] op_sel_hi:[1,0,0]
	v_mov_b32_e32 v107, v124
	v_mov_b32_e32 v241, v237
	v_pk_add_f32 v[236:237], v[238:239], v[240:241]
	s_nop 0
	v_pk_fma_f32 v[242:243], v[236:237], 0.5, v[22:23] op_sel_hi:[1,0,1] neg_lo:[1,0,0] neg_hi:[1,0,0]
	v_pk_add_f32 v[236:237], v[238:239], v[240:241] neg_lo:[0,1] neg_hi:[0,1]
	s_nop 0
	v_pk_mul_f32 v[244:245], v[236:237], s[2:3] op_sel_hi:[1,0]
	s_nop 0
	v_pk_add_f32 v[236:237], v[242:243], v[244:245] op_sel:[0,1] op_sel_hi:[1,0] neg_lo:[0,1] neg_hi:[0,1]
	v_pk_add_f32 v[242:243], v[242:243], v[244:245] op_sel:[0,1] op_sel_hi:[1,0]
	v_pk_mul_f32 v[244:245], v[20:21], v[120:121] op_sel:[0,1]
	s_nop 0
	v_pk_fma_f32 v[246:247], v[20:21], v[120:121], v[244:245] op_sel:[0,0,1] op_sel_hi:[1,1,0] neg_lo:[0,0,1] neg_hi:[0,0,1]
	v_pk_fma_f32 v[20:21], v[20:21], v[120:121], v[244:245] op_sel:[0,0,1] op_sel_hi:[1,0,0]
	s_nop 0
	v_mov_b32_e32 v247, v21
	v_pk_mul_f32 v[20:21], v[16:17], v[54:55] op_sel_hi:[1,0]
	s_nop 0
	v_pk_fma_f32 v[244:245], v[16:17], v[122:123], v[20:21] op_sel:[0,0,1] op_sel_hi:[1,1,0] neg_lo:[0,0,1] neg_hi:[0,0,1]
	v_pk_fma_f32 v[16:17], v[16:17], v[122:123], v[20:21] op_sel:[0,0,1] op_sel_hi:[1,0,0]
	v_pk_add_f32 v[20:21], v[182:183], v[186:187]
	v_mov_b32_e32 v245, v17
	v_pk_fma_f32 v[4:5], v[20:21], 0.5, v[4:5] op_sel_hi:[1,0,1] neg_lo:[1,0,0] neg_hi:[1,0,0]
	v_pk_add_f32 v[20:21], v[182:183], v[186:187] neg_lo:[0,1] neg_hi:[0,1]
	v_pk_add_f32 v[16:17], v[10:11], v[246:247]
	v_pk_mul_f32 v[20:21], v[20:21], s[2:3] op_sel_hi:[1,0]
	v_pk_add_f32 v[16:17], v[16:17], v[244:245]
	v_pk_add_f32 v[182:183], v[4:5], v[20:21] op_sel:[0,1] op_sel_hi:[1,0] neg_lo:[0,1] neg_hi:[0,1]
	v_pk_add_f32 v[4:5], v[4:5], v[20:21] op_sel:[0,1] op_sel_hi:[1,0]
	v_mov_b32_e32 v21, v183
	v_mov_b32_e32 v20, v4
	;; [unrolled: 1-line block ×3, first 2 shown]
	v_pk_add_f32 v[4:5], v[180:181], v[192:193]
	ds_write_b64 v160, v[20:21] offset:2160
	v_pk_fma_f32 v[4:5], v[4:5], 0.5, v[6:7] op_sel_hi:[1,0,1] neg_lo:[1,0,0] neg_hi:[1,0,0]
	v_pk_add_f32 v[6:7], v[180:181], v[192:193] neg_lo:[0,1] neg_hi:[0,1]
	ds_write_b64 v160, v[182:183] offset:4320
	ds_write2_b64 v160, v[178:179], v[194:195] offset1:81
	v_pk_mul_f32 v[6:7], v[6:7], s[2:3] op_sel_hi:[1,0]
	ds_write_b64 v160, v[190:191] offset:1296
	v_pk_add_f32 v[20:21], v[4:5], v[6:7] op_sel:[0,1] op_sel_hi:[1,0] neg_lo:[0,1] neg_hi:[0,1]
	v_pk_add_f32 v[4:5], v[4:5], v[6:7] op_sel:[0,1] op_sel_hi:[1,0]
	v_mov_b32_e32 v7, v21
	v_mov_b32_e32 v6, v4
	;; [unrolled: 1-line block ×3, first 2 shown]
	v_pk_add_f32 v[4:5], v[184:185], v[188:189]
	v_mov_b32_e32 v123, v125
	v_pk_fma_f32 v[4:5], v[4:5], 0.5, v[8:9] op_sel_hi:[1,0,1] neg_lo:[1,0,0] neg_hi:[1,0,0]
	v_pk_add_f32 v[8:9], v[184:185], v[188:189] neg_lo:[0,1] neg_hi:[0,1]
	s_nop 0
	v_pk_mul_f32 v[8:9], v[8:9], s[2:3] op_sel_hi:[1,0]
	s_nop 0
	v_pk_add_f32 v[178:179], v[4:5], v[8:9] op_sel:[0,1] op_sel_hi:[1,0] neg_lo:[0,1] neg_hi:[0,1]
	v_pk_add_f32 v[4:5], v[4:5], v[8:9] op_sel:[0,1] op_sel_hi:[1,0]
	v_mov_b32_e32 v9, v179
	v_mov_b32_e32 v8, v4
	ds_write2_b64 v163, v[6:7], v[8:9] offset0:95 offset1:176
	v_mov_b32_e32 v179, v5
	v_pk_add_f32 v[4:5], v[246:247], v[244:245]
	v_pk_add_f32 v[6:7], v[246:247], v[244:245] neg_lo:[0,1] neg_hi:[0,1]
	v_pk_fma_f32 v[4:5], v[4:5], 0.5, v[10:11] op_sel_hi:[1,0,1] neg_lo:[1,0,0] neg_hi:[1,0,0]
	v_pk_mul_f32 v[6:7], v[6:7], s[2:3] op_sel_hi:[1,0]
	ds_write2_b64 v124, v[20:21], v[178:179] offset0:109 offset1:190
	ds_write_b64 v119, v[16:17]
	v_pk_add_f32 v[8:9], v[4:5], v[6:7] op_sel:[0,1] op_sel_hi:[1,0]
	v_pk_add_f32 v[4:5], v[4:5], v[6:7] op_sel:[0,1] op_sel_hi:[1,0] neg_lo:[0,1] neg_hi:[0,1]
	v_mov_b32_e32 v6, v8
	v_mov_b32_e32 v7, v5
	;; [unrolled: 1-line block ×3, first 2 shown]
	ds_write_b64 v119, v[4:5] offset:4320
	v_pk_add_f32 v[4:5], v[22:23], v[238:239]
	v_pk_add_f32 v[8:9], v[24:25], v[232:233]
	;; [unrolled: 1-line block ×4, first 2 shown]
	ds_write_b64 v119, v[6:7] offset:2160
	v_mov_b32_e32 v6, v242
	v_mov_b32_e32 v7, v237
	ds_write2_b64 v254, v[4:5], v[8:9] offset0:96 offset1:177
	v_mov_b32_e32 v4, v230
	v_mov_b32_e32 v5, v229
	ds_write2_b64 v165, v[6:7], v[4:5] offset0:110 offset1:191
	v_pk_add_f32 v[4:5], v[12:13], v[220:221]
	v_mov_b32_e32 v237, v243
	v_mov_b32_e32 v229, v231
	v_pk_add_f32 v[4:5], v[4:5], v[222:223]
	ds_write2_b64 v252, v[236:237], v[228:229] offset0:124 offset1:205
	ds_write_b64 v115, v[4:5]
	v_mov_b32_e32 v4, v226
	v_mov_b32_e32 v5, v225
	ds_write_b64 v115, v[4:5] offset:2160
	v_pk_add_f32 v[4:5], v[14:15], v[212:213]
	v_mov_b32_e32 v225, v227
	v_pk_add_f32 v[4:5], v[4:5], v[214:215]
	ds_write_b64 v115, v[224:225] offset:4320
	ds_write_b64 v155, v[4:5] offset:12960
	v_mov_b32_e32 v4, v218
	v_mov_b32_e32 v5, v217
	ds_write_b64 v151, v[0:1] offset:12960
	v_mov_b32_e32 v0, v210
	v_mov_b32_e32 v1, v207
	ds_write_b64 v155, v[4:5] offset:15120
	ds_write_b64 v151, v[0:1] offset:15120
	v_pk_add_f32 v[0:1], v[2:3], v[176:177]
	v_mov_b32_e32 v217, v219
	v_pk_add_f32 v[0:1], v[0:1], v[174:175]
	v_mov_b32_e32 v207, v211
	ds_write_b64 v57, v[0:1] offset:12960
	v_mov_b32_e32 v0, v172
	v_mov_b32_e32 v1, v19
	;; [unrolled: 1-line block ×3, first 2 shown]
	ds_write_b64 v155, v[216:217] offset:17280
	ds_write_b64 v151, v[206:207] offset:17280
	;; [unrolled: 1-line block ×4, first 2 shown]
	s_waitcnt lgkmcnt(0)
	s_barrier
	global_load_dwordx4 v[192:195], v[26:27], off offset:2304
	v_add_co_u32_e32 v0, vcc, s11, v52
	s_nop 1
	v_addc_co_u32_e32 v1, vcc, 0, v53, vcc
	global_load_dwordx4 v[196:199], v[0:1], off offset:2304
	v_add_co_u32_e32 v0, vcc, s11, v170
	s_nop 1
	v_addc_co_u32_e32 v1, vcc, 0, v171, vcc
	global_load_dwordx4 v[188:191], v[0:1], off offset:2304
	v_lshlrev_b32_e32 v0, 4, v58
	v_mov_b32_e32 v1, v161
	v_lshl_add_u64 v[0:1], s[6:7], 0, v[0:1]
	v_add_co_u32_e32 v0, vcc, s11, v0
	s_nop 1
	v_addc_co_u32_e32 v1, vcc, 0, v1, vcc
	global_load_dwordx4 v[184:187], v[0:1], off offset:2304
	v_lshlrev_b32_e32 v0, 4, v166
	v_mov_b32_e32 v1, v161
	v_lshl_add_u64 v[0:1], s[6:7], 0, v[0:1]
	;; [unrolled: 7-line block ×3, first 2 shown]
	v_add_co_u32_e32 v0, vcc, s11, v0
	s_waitcnt vmcnt(0)
	v_mov_b32_e32 v54, v183
	v_addc_co_u32_e32 v1, vcc, 0, v1, vcc
	global_load_dwordx4 v[176:179], v[0:1], off offset:2304
	v_lshlrev_b32_e32 v0, 4, v162
	v_mov_b32_e32 v1, v161
	v_lshl_add_u64 v[0:1], s[6:7], 0, v[0:1]
	v_add_co_u32_e32 v0, vcc, s11, v0
	s_nop 1
	v_addc_co_u32_e32 v1, vcc, 0, v1, vcc
	global_load_dwordx4 v[172:175], v[0:1], off offset:2304
	v_lshlrev_b32_e32 v0, 4, v164
	v_mov_b32_e32 v1, v161
	v_lshl_add_u64 v[0:1], s[6:7], 0, v[0:1]
	v_add_co_u32_e32 v0, vcc, s11, v0
	s_waitcnt vmcnt(0)
	v_accvgpr_write_b32 a208, v175
	v_addc_co_u32_e32 v1, vcc, 0, v1, vcc
	global_load_dwordx4 v[168:171], v[0:1], off offset:2304
	v_lshlrev_b32_e32 v0, 4, v204
	v_mov_b32_e32 v1, v161
	v_lshl_add_u64 v[0:1], s[6:7], 0, v[0:1]
	v_add_co_u32_e32 v0, vcc, s11, v0
	s_waitcnt vmcnt(0)
	v_accvgpr_write_b32 a210, v171
	v_addc_co_u32_e32 v1, vcc, 0, v1, vcc
	global_load_dwordx4 v[164:167], v[0:1], off offset:2304
	v_lshlrev_b32_e32 v0, 4, v202
	v_mov_b32_e32 v1, v161
	v_lshl_add_u64 v[0:1], s[6:7], 0, v[0:1]
	v_add_co_u32_e32 v0, vcc, s11, v0
	s_mov_b64 s[6:7], 0x4bf0
	s_nop 0
	v_addc_co_u32_e32 v1, vcc, 0, v1, vcc
	global_load_dwordx4 v[100:103], v[0:1], off offset:2304
	ds_read2_b64 v[0:3], v160 offset1:81
	ds_read2_b64 v[4:7], v254 offset0:42 offset1:123
	ds_read2_b64 v[8:11], v125 offset0:84 offset1:165
	v_mov_b32_e32 v161, v252
	s_waitcnt lgkmcnt(1)
	v_pk_mul_f32 v[12:13], v[4:5], v[192:193] op_sel:[0,1]
	s_nop 0
	v_pk_fma_f32 v[22:23], v[4:5], v[192:193], v[12:13] op_sel:[0,0,1] op_sel_hi:[1,1,0] neg_lo:[0,0,1] neg_hi:[0,0,1]
	v_pk_fma_f32 v[4:5], v[4:5], v[192:193], v[12:13] op_sel:[0,0,1] op_sel_hi:[1,0,0]
	v_mov_b32_e32 v12, v195
	v_mov_b32_e32 v23, v5
	s_waitcnt lgkmcnt(0)
	v_pk_mul_f32 v[4:5], v[8:9], v[12:13] op_sel_hi:[1,0]
	s_waitcnt vmcnt(1)
	v_accvgpr_write_b32 a212, v167
	v_pk_fma_f32 v[24:25], v[8:9], v[194:195], v[4:5] op_sel:[0,0,1] op_sel_hi:[1,1,0] neg_lo:[0,0,1] neg_hi:[0,0,1]
	v_pk_fma_f32 v[4:5], v[8:9], v[194:195], v[4:5] op_sel:[0,0,1] op_sel_hi:[1,0,0]
	s_waitcnt vmcnt(0)
	v_accvgpr_write_b32 a214, v103
	v_mov_b32_e32 v25, v5
	v_pk_add_f32 v[4:5], v[0:1], v[22:23]
	s_nop 0
	v_pk_add_f32 v[16:17], v[4:5], v[24:25]
	v_pk_mul_f32 v[4:5], v[6:7], v[196:197] op_sel:[0,1]
	s_nop 0
	v_pk_fma_f32 v[20:21], v[6:7], v[196:197], v[4:5] op_sel:[0,0,1] op_sel_hi:[1,1,0] neg_lo:[0,0,1] neg_hi:[0,0,1]
	v_pk_fma_f32 v[4:5], v[6:7], v[196:197], v[4:5] op_sel:[0,0,1] op_sel_hi:[1,0,0]
	v_mov_b32_e32 v6, v199
	v_mov_b32_e32 v21, v5
	v_pk_mul_f32 v[4:5], v[10:11], v[6:7] op_sel_hi:[1,0]
	s_nop 0
	v_pk_fma_f32 v[26:27], v[10:11], v[198:199], v[4:5] op_sel:[0,0,1] op_sel_hi:[1,1,0] neg_lo:[0,0,1] neg_hi:[0,0,1]
	v_pk_fma_f32 v[4:5], v[10:11], v[198:199], v[4:5] op_sel:[0,0,1] op_sel_hi:[1,0,0]
	s_nop 0
	v_mov_b32_e32 v27, v5
	v_pk_add_f32 v[4:5], v[2:3], v[20:21]
	s_nop 0
	v_pk_add_f32 v[18:19], v[4:5], v[26:27]
	ds_read2_b64 v[4:7], v160 offset0:162 offset1:243
	ds_read2_b64 v[8:11], v249 offset0:76 offset1:157
	;; [unrolled: 1-line block ×3, first 2 shown]
	s_waitcnt lgkmcnt(1)
	v_pk_mul_f32 v[52:53], v[8:9], v[188:189] op_sel:[0,1]
	s_nop 0
	v_pk_fma_f32 v[202:203], v[8:9], v[188:189], v[52:53] op_sel:[0,0,1] op_sel_hi:[1,1,0] neg_lo:[0,0,1] neg_hi:[0,0,1]
	v_pk_fma_f32 v[8:9], v[8:9], v[188:189], v[52:53] op_sel:[0,0,1] op_sel_hi:[1,0,0]
	v_mov_b32_e32 v52, v191
	v_mov_b32_e32 v203, v9
	s_waitcnt lgkmcnt(0)
	v_pk_mul_f32 v[8:9], v[12:13], v[52:53] op_sel_hi:[1,0]
	s_nop 0
	v_pk_fma_f32 v[204:205], v[12:13], v[190:191], v[8:9] op_sel:[0,0,1] op_sel_hi:[1,1,0] neg_lo:[0,0,1] neg_hi:[0,0,1]
	v_pk_fma_f32 v[8:9], v[12:13], v[190:191], v[8:9] op_sel:[0,0,1] op_sel_hi:[1,0,0]
	s_nop 0
	v_mov_b32_e32 v205, v9
	v_pk_add_f32 v[8:9], v[4:5], v[202:203]
	s_nop 0
	v_pk_add_f32 v[52:53], v[8:9], v[204:205]
	v_pk_mul_f32 v[8:9], v[10:11], v[184:185] op_sel:[0,1]
	s_nop 0
	v_pk_fma_f32 v[226:227], v[10:11], v[184:185], v[8:9] op_sel:[0,0,1] op_sel_hi:[1,1,0] neg_lo:[0,0,1] neg_hi:[0,0,1]
	v_pk_fma_f32 v[8:9], v[10:11], v[184:185], v[8:9] op_sel:[0,0,1] op_sel_hi:[1,0,0]
	v_mov_b32_e32 v10, v187
	v_mov_b32_e32 v227, v9
	v_pk_mul_f32 v[8:9], v[14:15], v[10:11] op_sel_hi:[1,0]
	s_nop 0
	v_pk_fma_f32 v[232:233], v[14:15], v[186:187], v[8:9] op_sel:[0,0,1] op_sel_hi:[1,1,0] neg_lo:[0,0,1] neg_hi:[0,0,1]
	v_pk_fma_f32 v[8:9], v[14:15], v[186:187], v[8:9] op_sel:[0,0,1] op_sel_hi:[1,0,0]
	s_nop 0
	v_mov_b32_e32 v233, v9
	v_pk_add_f32 v[8:9], v[6:7], v[226:227]
	s_nop 0
	v_pk_add_f32 v[234:235], v[8:9], v[232:233]
	ds_read2_b64 v[8:11], v163 offset0:68 offset1:149
	ds_read2_b64 v[12:15], v131 offset0:110 offset1:191
	;; [unrolled: 1-line block ×3, first 2 shown]
	v_accvgpr_read_b32 v127, a103
	s_waitcnt lgkmcnt(1)
	v_pk_mul_f32 v[206:207], v[12:13], v[180:181] op_sel:[0,1]
	s_nop 0
	v_pk_fma_f32 v[236:237], v[12:13], v[180:181], v[206:207] op_sel:[0,0,1] op_sel_hi:[1,1,0] neg_lo:[0,0,1] neg_hi:[0,0,1]
	v_pk_fma_f32 v[12:13], v[12:13], v[180:181], v[206:207] op_sel:[0,0,1] op_sel_hi:[1,0,0]
	s_nop 0
	v_mov_b32_e32 v237, v13
	s_waitcnt lgkmcnt(0)
	v_pk_mul_f32 v[12:13], v[212:213], v[54:55] op_sel_hi:[1,0]
	v_mov_b32_e32 v54, v175
	v_pk_fma_f32 v[238:239], v[212:213], v[182:183], v[12:13] op_sel:[0,0,1] op_sel_hi:[1,1,0] neg_lo:[0,0,1] neg_hi:[0,0,1]
	v_pk_fma_f32 v[12:13], v[212:213], v[182:183], v[12:13] op_sel:[0,0,1] op_sel_hi:[1,0,0]
	s_nop 0
	v_mov_b32_e32 v239, v13
	v_pk_add_f32 v[12:13], v[8:9], v[236:237]
	s_nop 0
	v_pk_add_f32 v[206:207], v[12:13], v[238:239]
	v_pk_mul_f32 v[12:13], v[14:15], v[176:177] op_sel:[0,1]
	s_nop 0
	v_pk_fma_f32 v[210:211], v[14:15], v[176:177], v[12:13] op_sel:[0,0,1] op_sel_hi:[1,1,0] neg_lo:[0,0,1] neg_hi:[0,0,1]
	v_pk_fma_f32 v[12:13], v[14:15], v[176:177], v[12:13] op_sel:[0,0,1] op_sel_hi:[1,0,0]
	v_mov_b32_e32 v14, v179
	v_mov_b32_e32 v211, v13
	v_pk_mul_f32 v[12:13], v[214:215], v[14:15] op_sel_hi:[1,0]
	s_nop 0
	v_pk_fma_f32 v[212:213], v[214:215], v[178:179], v[12:13] op_sel:[0,0,1] op_sel_hi:[1,1,0] neg_lo:[0,0,1] neg_hi:[0,0,1]
	v_pk_fma_f32 v[12:13], v[214:215], v[178:179], v[12:13] op_sel:[0,0,1] op_sel_hi:[1,0,0]
	s_nop 0
	v_mov_b32_e32 v213, v13
	v_pk_add_f32 v[12:13], v[10:11], v[210:211]
	s_nop 0
	v_pk_add_f32 v[216:217], v[12:13], v[212:213]
	ds_read2_b64 v[12:15], v251 offset0:102 offset1:183
	ds_read2_b64 v[222:225], v252 offset0:16 offset1:97
	;; [unrolled: 1-line block ×3, first 2 shown]
	ds_write2_b64 v160, v[16:17], v[18:19] offset1:81
	ds_write2_b64 v160, v[52:53], v[234:235] offset0:162 offset1:243
	v_mov_b32_e32 v18, v171
	s_waitcnt lgkmcnt(3)
	v_pk_mul_f32 v[214:215], v[222:223], v[172:173] op_sel:[0,1]
	v_pk_mul_f32 v[16:17], v[224:225], v[168:169] op_sel:[0,1]
	v_pk_fma_f32 v[218:219], v[222:223], v[172:173], v[214:215] op_sel:[0,0,1] op_sel_hi:[1,1,0] neg_lo:[0,0,1] neg_hi:[0,0,1]
	v_pk_fma_f32 v[214:215], v[222:223], v[172:173], v[214:215] op_sel:[0,0,1] op_sel_hi:[1,0,0]
	v_pk_fma_f32 v[222:223], v[224:225], v[168:169], v[16:17] op_sel:[0,0,1] op_sel_hi:[1,1,0] neg_lo:[0,0,1] neg_hi:[0,0,1]
	v_pk_fma_f32 v[16:17], v[224:225], v[168:169], v[16:17] op_sel:[0,0,1] op_sel_hi:[1,0,0]
	v_mov_b32_e32 v219, v215
	v_mov_b32_e32 v223, v17
	s_waitcnt lgkmcnt(2)
	v_pk_mul_f32 v[16:17], v[230:231], v[18:19] op_sel_hi:[1,0]
	v_pk_mul_f32 v[214:215], v[228:229], v[54:55] op_sel_hi:[1,0]
	v_pk_fma_f32 v[224:225], v[230:231], v[170:171], v[16:17] op_sel:[0,0,1] op_sel_hi:[1,1,0] neg_lo:[0,0,1] neg_hi:[0,0,1]
	v_pk_fma_f32 v[16:17], v[230:231], v[170:171], v[16:17] op_sel:[0,0,1] op_sel_hi:[1,0,0]
	v_pk_fma_f32 v[220:221], v[228:229], v[174:175], v[214:215] op_sel:[0,0,1] op_sel_hi:[1,1,0] neg_lo:[0,0,1] neg_hi:[0,0,1]
	v_mov_b32_e32 v225, v17
	v_pk_add_f32 v[16:17], v[14:15], v[222:223]
	v_pk_fma_f32 v[214:215], v[228:229], v[174:175], v[214:215] op_sel:[0,0,1] op_sel_hi:[1,0,0]
	v_pk_add_f32 v[52:53], v[16:17], v[224:225]
	ds_read2_b64 v[16:19], v124 offset0:136 offset1:217
	ds_read2_b64 v[240:243], v248 offset0:50 offset1:131
	ds_read2_b64 v[244:247], v253 offset0:92 offset1:173
	v_mov_b32_e32 v54, v167
	v_mov_b32_e32 v221, v215
	v_pk_add_f32 v[214:215], v[12:13], v[218:219]
	s_waitcnt lgkmcnt(1)
	v_pk_mul_f32 v[228:229], v[240:241], v[164:165] op_sel:[0,1]
	v_pk_add_f32 v[214:215], v[214:215], v[220:221]
	v_pk_fma_f32 v[230:231], v[240:241], v[164:165], v[228:229] op_sel:[0,0,1] op_sel_hi:[1,1,0] neg_lo:[0,0,1] neg_hi:[0,0,1]
	v_pk_fma_f32 v[228:229], v[240:241], v[164:165], v[228:229] op_sel:[0,0,1] op_sel_hi:[1,0,0]
	v_pk_add_f32 v[240:241], v[226:227], v[232:233]
	v_pk_add_f32 v[226:227], v[226:227], v[232:233] neg_lo:[0,1] neg_hi:[0,1]
	v_pk_fma_f32 v[6:7], v[240:241], 0.5, v[6:7] op_sel_hi:[1,0,1] neg_lo:[1,0,0] neg_hi:[1,0,0]
	v_pk_mul_f32 v[226:227], v[226:227], s[2:3] op_sel_hi:[1,0]
	v_mov_b32_e32 v231, v229
	v_pk_add_f32 v[232:233], v[6:7], v[226:227] op_sel:[0,1] op_sel_hi:[1,0]
	v_pk_add_f32 v[240:241], v[6:7], v[226:227] op_sel:[0,1] op_sel_hi:[1,0] neg_lo:[0,1] neg_hi:[0,1]
	v_pk_add_f32 v[6:7], v[236:237], v[238:239]
	s_waitcnt lgkmcnt(0)
	v_pk_mul_f32 v[228:229], v[244:245], v[54:55] op_sel_hi:[1,0]
	v_pk_fma_f32 v[6:7], v[6:7], 0.5, v[8:9] op_sel_hi:[1,0,1] neg_lo:[1,0,0] neg_hi:[1,0,0]
	v_pk_add_f32 v[8:9], v[236:237], v[238:239] neg_lo:[0,1] neg_hi:[0,1]
	v_pk_add_f32 v[238:239], v[22:23], v[24:25]
	v_pk_add_f32 v[22:23], v[22:23], v[24:25] neg_lo:[0,1] neg_hi:[0,1]
	v_pk_fma_f32 v[0:1], v[238:239], 0.5, v[0:1] op_sel_hi:[1,0,1] neg_lo:[1,0,0] neg_hi:[1,0,0]
	v_pk_mul_f32 v[22:23], v[22:23], s[2:3] op_sel_hi:[1,0]
	v_pk_fma_f32 v[234:235], v[244:245], v[166:167], v[228:229] op_sel:[0,0,1] op_sel_hi:[1,1,0] neg_lo:[0,0,1] neg_hi:[0,0,1]
	v_pk_add_f32 v[24:25], v[0:1], v[22:23] op_sel:[0,1] op_sel_hi:[1,0]
	v_pk_add_f32 v[0:1], v[0:1], v[22:23] op_sel:[0,1] op_sel_hi:[1,0] neg_lo:[0,1] neg_hi:[0,1]
	v_mov_b32_e32 v23, v25
	v_mov_b32_e32 v22, v0
	v_mov_b32_e32 v25, v1
	v_pk_add_f32 v[0:1], v[20:21], v[26:27]
	v_pk_fma_f32 v[228:229], v[244:245], v[166:167], v[228:229] op_sel:[0,0,1] op_sel_hi:[1,0,0]
	v_pk_fma_f32 v[0:1], v[0:1], 0.5, v[2:3] op_sel_hi:[1,0,1] neg_lo:[1,0,0] neg_hi:[1,0,0]
	v_pk_add_f32 v[2:3], v[20:21], v[26:27] neg_lo:[0,1] neg_hi:[0,1]
	v_mov_b32_e32 v245, v241
	v_pk_mul_f32 v[2:3], v[2:3], s[2:3] op_sel_hi:[1,0]
	v_mov_b32_e32 v241, v233
	v_pk_add_f32 v[20:21], v[0:1], v[2:3] op_sel:[0,1] op_sel_hi:[1,0]
	v_pk_add_f32 v[0:1], v[0:1], v[2:3] op_sel:[0,1] op_sel_hi:[1,0] neg_lo:[0,1] neg_hi:[0,1]
	v_mov_b32_e32 v3, v21
	v_mov_b32_e32 v2, v0
	ds_write2_b64 v125, v[22:23], v[2:3] offset0:84 offset1:165
	v_mov_b32_e32 v21, v1
	v_pk_add_f32 v[0:1], v[202:203], v[204:205]
	v_pk_add_f32 v[2:3], v[202:203], v[204:205] neg_lo:[0,1] neg_hi:[0,1]
	v_pk_fma_f32 v[0:1], v[0:1], 0.5, v[4:5] op_sel_hi:[1,0,1] neg_lo:[1,0,0] neg_hi:[1,0,0]
	v_pk_mul_f32 v[2:3], v[2:3], s[2:3] op_sel_hi:[1,0]
	v_pk_mul_f32 v[8:9], v[8:9], s[2:3] op_sel_hi:[1,0]
	v_pk_add_f32 v[4:5], v[0:1], v[2:3] op_sel:[0,1] op_sel_hi:[1,0]
	v_pk_add_f32 v[0:1], v[0:1], v[2:3] op_sel:[0,1] op_sel_hi:[1,0] neg_lo:[0,1] neg_hi:[0,1]
	v_mov_b32_e32 v3, v5
	v_mov_b32_e32 v2, v0
	ds_write2_b64 v255, v[2:3], v[240:241] offset0:118 offset1:199
	v_mov_b32_e32 v5, v1
	v_pk_add_f32 v[0:1], v[210:211], v[212:213]
	v_pk_add_f32 v[2:3], v[210:211], v[212:213] neg_lo:[0,1] neg_hi:[0,1]
	v_mov_b32_e32 v244, v232
	v_pk_add_f32 v[232:233], v[6:7], v[8:9] op_sel:[0,1] op_sel_hi:[1,0]
	v_pk_add_f32 v[236:237], v[6:7], v[8:9] op_sel:[0,1] op_sel_hi:[1,0] neg_lo:[0,1] neg_hi:[0,1]
	v_pk_fma_f32 v[0:1], v[0:1], 0.5, v[10:11] op_sel_hi:[1,0,1] neg_lo:[1,0,0] neg_hi:[1,0,0]
	v_pk_mul_f32 v[2:3], v[2:3], s[2:3] op_sel_hi:[1,0]
	v_mov_b32_e32 v6, v232
	v_mov_b32_e32 v7, v237
	v_pk_mul_f32 v[8:9], v[242:243], v[100:101] op_sel:[0,1]
	ds_write2_b64 v249, v[4:5], v[244:245] offset0:76 offset1:157
	v_pk_add_f32 v[4:5], v[0:1], v[2:3] op_sel:[0,1] op_sel_hi:[1,0]
	v_pk_add_f32 v[0:1], v[0:1], v[2:3] op_sel:[0,1] op_sel_hi:[1,0] neg_lo:[0,1] neg_hi:[0,1]
	ds_write_b64 v160, v[6:7] offset:9072
	v_pk_fma_f32 v[6:7], v[242:243], v[100:101], v[8:9] op_sel:[0,0,1] op_sel_hi:[1,1,0] neg_lo:[0,0,1] neg_hi:[0,0,1]
	v_pk_fma_f32 v[8:9], v[242:243], v[100:101], v[8:9] op_sel:[0,0,1] op_sel_hi:[1,0,0]
	v_mov_b32_e32 v2, v4
	v_mov_b32_e32 v3, v1
	v_mov_b32_e32 v1, v5
	v_pk_add_f32 v[4:5], v[218:219], v[220:221]
	v_pk_add_f32 v[10:11], v[218:219], v[220:221] neg_lo:[0,1] neg_hi:[0,1]
	v_mov_b32_e32 v8, v103
	v_pk_fma_f32 v[4:5], v[4:5], 0.5, v[12:13] op_sel_hi:[1,0,1] neg_lo:[1,0,0] neg_hi:[1,0,0]
	v_pk_mul_f32 v[10:11], v[10:11], s[2:3] op_sel_hi:[1,0]
	v_pk_mul_f32 v[226:227], v[246:247], v[8:9] op_sel_hi:[1,0]
	v_pk_add_f32 v[12:13], v[4:5], v[10:11] op_sel:[0,1] op_sel_hi:[1,0]
	v_pk_add_f32 v[4:5], v[4:5], v[10:11] op_sel:[0,1] op_sel_hi:[1,0] neg_lo:[0,1] neg_hi:[0,1]
	v_mov_b32_e32 v7, v9
	v_pk_fma_f32 v[8:9], v[246:247], v[102:103], v[226:227] op_sel:[0,0,1] op_sel_hi:[1,1,0] neg_lo:[0,0,1] neg_hi:[0,0,1]
	v_pk_fma_f32 v[226:227], v[246:247], v[102:103], v[226:227] op_sel:[0,0,1] op_sel_hi:[1,0,0]
	v_mov_b32_e32 v237, v233
	v_mov_b32_e32 v10, v12
	v_mov_b32_e32 v11, v5
	v_add_u32_e32 v103, 0x2400, v160
	v_mov_b32_e32 v5, v13
	ds_write2_b64 v254, v[24:25], v[20:21] offset0:42 offset1:123
	ds_write_b64 v160, v[236:237] offset:15552
	ds_write2_b64 v163, v[206:207], v[216:217] offset0:68 offset1:149
	ds_write2_b64 v103, v[2:3], v[10:11] offset0:63 offset1:144
	ds_write2_b64 v127, v[0:1], v[4:5] offset0:105 offset1:186
	ds_write2_b64 v251, v[214:215], v[52:53] offset0:102 offset1:183
	v_pk_add_f32 v[0:1], v[222:223], v[224:225]
	v_pk_add_f32 v[2:3], v[222:223], v[224:225] neg_lo:[0,1] neg_hi:[0,1]
	v_pk_fma_f32 v[0:1], v[0:1], 0.5, v[14:15] op_sel_hi:[1,0,1] neg_lo:[1,0,0] neg_hi:[1,0,0]
	v_pk_mul_f32 v[2:3], v[2:3], s[2:3] op_sel_hi:[1,0]
	v_mov_b32_e32 v235, v229
	v_pk_add_f32 v[4:5], v[0:1], v[2:3] op_sel:[0,1] op_sel_hi:[1,0]
	v_pk_add_f32 v[0:1], v[0:1], v[2:3] op_sel:[0,1] op_sel_hi:[1,0] neg_lo:[0,1] neg_hi:[0,1]
	v_mov_b32_e32 v2, v4
	v_mov_b32_e32 v3, v1
	;; [unrolled: 1-line block ×3, first 2 shown]
	ds_write_b64 v160, v[0:1] offset:17496
	v_pk_add_f32 v[0:1], v[230:231], v[234:235]
	v_pk_add_f32 v[4:5], v[230:231], v[234:235] neg_lo:[0,1] neg_hi:[0,1]
	v_pk_fma_f32 v[0:1], v[0:1], 0.5, v[16:17] op_sel_hi:[1,0,1] neg_lo:[1,0,0] neg_hi:[1,0,0]
	v_pk_mul_f32 v[4:5], v[4:5], s[2:3] op_sel_hi:[1,0]
	v_mov_b32_e32 v9, v227
	v_pk_add_f32 v[10:11], v[0:1], v[4:5] op_sel:[0,1] op_sel_hi:[1,0]
	v_pk_add_f32 v[0:1], v[0:1], v[4:5] op_sel:[0,1] op_sel_hi:[1,0] neg_lo:[0,1] neg_hi:[0,1]
	v_mov_b32_e32 v4, v10
	v_mov_b32_e32 v5, v1
	ds_write2_b64 v252, v[2:3], v[4:5] offset0:97 offset1:178
	v_pk_add_f32 v[2:3], v[6:7], v[8:9]
	v_pk_add_f32 v[4:5], v[6:7], v[8:9] neg_lo:[0,1] neg_hi:[0,1]
	v_pk_fma_f32 v[2:3], v[2:3], 0.5, v[18:19] op_sel_hi:[1,0,1] neg_lo:[1,0,0] neg_hi:[1,0,0]
	v_pk_mul_f32 v[4:5], v[4:5], s[2:3] op_sel_hi:[1,0]
	v_pk_add_f32 v[228:229], v[16:17], v[230:231]
	v_pk_add_f32 v[226:227], v[18:19], v[6:7]
	v_pk_add_f32 v[6:7], v[2:3], v[4:5] op_sel:[0,1] op_sel_hi:[1,0]
	v_pk_add_f32 v[2:3], v[2:3], v[4:5] op_sel:[0,1] op_sel_hi:[1,0] neg_lo:[0,1] neg_hi:[0,1]
	v_pk_add_f32 v[228:229], v[228:229], v[234:235]
	v_pk_add_f32 v[226:227], v[226:227], v[8:9]
	v_mov_b32_e32 v1, v11
	v_mov_b32_e32 v4, v6
	;; [unrolled: 1-line block ×4, first 2 shown]
	ds_write2_b64 v124, v[228:229], v[226:227] offset0:136 offset1:217
	ds_write_b64 v160, v[4:5] offset:12312
	ds_write2_b64 v253, v[0:1], v[2:3] offset0:92 offset1:173
	s_waitcnt lgkmcnt(0)
	s_barrier
	global_load_dwordx2 v[4:5], v[200:201], off offset:3056
	ds_read2_b64 v[0:3], v160 offset1:81
	s_movk_i32 s3, 0x6000
	v_add_co_u32_e32 v210, vcc, s3, v208
	s_movk_i32 s3, 0x7000
	s_nop 0
	v_addc_co_u32_e32 v211, vcc, 0, v209, vcc
	global_load_dwordx2 v[8:9], v[210:211], off offset:696
	v_add_co_u32_e32 v212, vcc, s3, v208
	v_lshl_add_u64 v[222:223], v[208:209], 0, s[6:7]
	s_nop 0
	v_addc_co_u32_e32 v213, vcc, 0, v209, vcc
	global_load_dwordx2 v[10:11], v[212:213], off offset:488
	s_mov_b32 s3, 0x8000
	v_add_co_u32_e32 v214, vcc, s3, v208
	s_mov_b32 s3, 0x9000
	s_nop 0
	v_addc_co_u32_e32 v215, vcc, 0, v209, vcc
	v_mov_b32_e32 v175, v31
	v_mov_b32_e32 v171, v253
	s_mov_b32 s6, s10
	s_mov_b32 s7, s8
	v_accvgpr_read_b32 v167, a103
	s_waitcnt vmcnt(2) lgkmcnt(0)
	v_mul_f32_e32 v6, v1, v5
	v_mul_f32_e32 v7, v0, v5
	v_fma_f32 v6, v0, v4, -v6
	v_fmac_f32_e32 v7, v1, v4
	global_load_dwordx2 v[0:1], v[222:223], off offset:1944
	ds_write_b64 v160, v[6:7]
	ds_read2_b64 v[14:17], v160 offset0:162 offset1:243
	ds_read2_b64 v[20:23], v249 offset0:76 offset1:157
	;; [unrolled: 1-line block ×5, first 2 shown]
	s_waitcnt vmcnt(0) lgkmcnt(4)
	v_mul_f32_e32 v4, v17, v1
	v_mul_f32_e32 v53, v16, v1
	v_fma_f32 v52, v16, v0, -v4
	v_fmac_f32_e32 v53, v17, v0
	global_load_dwordx2 v[0:1], v[222:223], off offset:3888
	ds_read2_b64 v[16:19], v251 offset0:102 offset1:183
	s_waitcnt vmcnt(0) lgkmcnt(0)
	v_mul_f32_e32 v4, v17, v1
	v_fma_f32 v224, v16, v0, -v4
	ds_read2_b64 v[4:7], v124 offset0:136 offset1:217
	v_mul_f32_e32 v225, v16, v1
	v_fmac_f32_e32 v225, v17, v0
	s_waitcnt lgkmcnt(0)
	v_mul_f32_e32 v0, v7, v9
	v_mul_f32_e32 v1, v6, v9
	v_fma_f32 v0, v6, v8, -v0
	v_fmac_f32_e32 v1, v7, v8
	global_load_dwordx2 v[6:7], v[210:211], off offset:2640
	s_waitcnt vmcnt(0)
	v_mul_f32_e32 v8, v21, v7
	v_mul_f32_e32 v217, v20, v7
	v_fma_f32 v216, v20, v6, -v8
	v_fmac_f32_e32 v217, v21, v6
	ds_read2_b64 v[6:9], v131 offset0:110 offset1:191
	s_waitcnt lgkmcnt(0)
	v_mul_f32_e32 v12, v9, v11
	v_mul_f32_e32 v227, v8, v11
	v_fma_f32 v226, v8, v10, -v12
	v_fmac_f32_e32 v227, v9, v10
	global_load_dwordx2 v[8:9], v[212:213], off offset:2432
	global_load_dwordx2 v[12:13], v[214:215], off offset:280
	s_waitcnt vmcnt(1)
	v_mul_f32_e32 v10, v25, v9
	v_mul_f32_e32 v219, v24, v9
	v_fma_f32 v218, v24, v8, -v10
	v_fmac_f32_e32 v219, v25, v8
	ds_read2_b64 v[8:11], v125 offset0:84 offset1:165
	s_waitcnt vmcnt(0) lgkmcnt(0)
	v_mul_f32_e32 v16, v11, v13
	v_mul_f32_e32 v229, v10, v13
	v_fma_f32 v228, v10, v12, -v16
	v_fmac_f32_e32 v229, v11, v12
	global_load_dwordx2 v[10:11], v[214:215], off offset:2224
	s_waitcnt vmcnt(0)
	v_mul_f32_e32 v12, v201, v11
	v_fma_f32 v220, v200, v10, -v12
	v_mul_f32_e32 v221, v200, v11
	v_add_co_u32_e32 v200, vcc, s3, v208
	v_fmac_f32_e32 v221, v201, v10
	s_nop 0
	v_addc_co_u32_e32 v201, vcc, 0, v209, vcc
	global_load_dwordx2 v[16:17], v[200:201], off offset:72
	ds_read2_b64 v[10:13], v250 offset0:58 offset1:139
	s_movk_i32 s3, 0x5000
	s_waitcnt vmcnt(0) lgkmcnt(0)
	v_mul_f32_e32 v20, v13, v17
	v_mul_f32_e32 v231, v12, v17
	v_fma_f32 v230, v12, v16, -v20
	v_fmac_f32_e32 v231, v13, v16
	global_load_dwordx2 v[12:13], v[222:223], off offset:648
	s_waitcnt vmcnt(0)
	v_mul_f32_e32 v16, v3, v13
	v_mul_f32_e32 v233, v2, v13
	v_fma_f32 v232, v2, v12, -v16
	v_fmac_f32_e32 v233, v3, v12
	global_load_dwordx2 v[2:3], v[222:223], off offset:2592
	s_waitcnt vmcnt(0)
	v_mul_f32_e32 v12, v205, v3
	v_mul_f32_e32 v13, v204, v3
	v_fma_f32 v12, v204, v2, -v12
	v_fmac_f32_e32 v13, v205, v2
	v_add_u32_e32 v2, 0x400, v160
	ds_write2_b64 v2, v[52:53], v[12:13] offset0:115 offset1:196
	v_add_co_u32_e32 v2, vcc, s3, v208
	s_nop 1
	v_addc_co_u32_e32 v3, vcc, 0, v209, vcc
	global_load_dwordx2 v[2:3], v[2:3], off offset:3496
	s_waitcnt vmcnt(0)
	v_mul_f32_e32 v12, v19, v3
	v_mul_f32_e32 v13, v18, v3
	v_fma_f32 v12, v18, v2, -v12
	v_fmac_f32_e32 v13, v19, v2
	global_load_dwordx2 v[2:3], v[210:211], off offset:1344
	ds_read2_b64 v[16:19], v254 offset0:42 offset1:123
	s_waitcnt vmcnt(0) lgkmcnt(0)
	v_mul_f32_e32 v20, v17, v3
	v_mul_f32_e32 v21, v16, v3
	v_fma_f32 v20, v16, v2, -v20
	v_fmac_f32_e32 v21, v17, v2
	v_add_u32_e32 v2, 0x1400, v160
	ds_write2_b64 v2, v[0:1], v[20:21] offset0:89 offset1:170
	global_load_dwordx2 v[0:1], v[210:211], off offset:3288
	s_waitcnt vmcnt(0)
	v_mul_f32_e32 v2, v23, v1
	v_mul_f32_e32 v53, v22, v1
	v_fma_f32 v52, v22, v0, -v2
	v_fmac_f32_e32 v53, v23, v0
	global_load_dwordx2 v[0:1], v[212:213], off offset:1136
	ds_read2_b64 v[20:23], v252 offset0:16 offset1:97
	s_waitcnt vmcnt(0) lgkmcnt(0)
	v_mul_f32_e32 v2, v21, v1
	v_mul_f32_e32 v3, v20, v1
	v_fma_f32 v2, v20, v0, -v2
	v_fmac_f32_e32 v3, v21, v0
	global_load_dwordx2 v[0:1], v[212:213], off offset:3080
	ds_write2_b64 v103, v[226:227], v[2:3] offset0:63 offset1:144
	s_waitcnt vmcnt(0)
	v_mul_f32_e32 v2, v27, v1
	v_mul_f32_e32 v21, v26, v1
	v_fma_f32 v20, v26, v0, -v2
	v_fmac_f32_e32 v21, v27, v0
	global_load_dwordx2 v[0:1], v[214:215], off offset:928
	ds_read2_b64 v[24:27], v255 offset0:118 offset1:199
	s_waitcnt vmcnt(0) lgkmcnt(0)
	v_mul_f32_e32 v2, v25, v1
	v_mul_f32_e32 v3, v24, v1
	v_fma_f32 v2, v24, v0, -v2
	v_fmac_f32_e32 v3, v25, v0
	global_load_dwordx2 v[0:1], v[214:215], off offset:2872
	global_load_dwordx2 v[24:25], v[200:201], off offset:720
	ds_write2_b64 v125, v[228:229], v[2:3] offset0:165 offset1:246
	s_waitcnt vmcnt(1)
	v_mul_f32_e32 v2, v203, v1
	v_mul_f32_e32 v17, v202, v1
	v_fma_f32 v16, v202, v0, -v2
	v_fmac_f32_e32 v17, v203, v0
	ds_read2_b64 v[0:3], v253 offset0:92 offset1:173
	s_waitcnt vmcnt(0) lgkmcnt(0)
	v_mul_f32_e32 v31, v1, v25
	v_mul_f32_e32 v203, v0, v25
	v_fma_f32 v202, v0, v24, -v31
	v_fmac_f32_e32 v203, v1, v24
	global_load_dwordx2 v[0:1], v[222:223], off offset:1296
	ds_write2_b64 v250, v[230:231], v[202:203] offset0:139 offset1:220
	s_waitcnt vmcnt(0)
	v_mul_f32_e32 v24, v15, v1
	v_mul_f32_e32 v25, v14, v1
	v_fma_f32 v24, v14, v0, -v24
	v_fmac_f32_e32 v25, v15, v0
	global_load_dwordx2 v[0:1], v[222:223], off offset:3240
	ds_write2_b64 v160, v[232:233], v[24:25] offset0:81 offset1:162
	s_waitcnt vmcnt(0)
	;; [unrolled: 7-line block ×10, first 2 shown]
	v_mul_f32_e32 v4, v3, v1
	v_mul_f32_e32 v5, v2, v1
	v_fma_f32 v4, v2, v0, -v4
	v_fmac_f32_e32 v5, v3, v0
	ds_write_b64 v160, v[4:5] offset:18792
	s_waitcnt lgkmcnt(0)
	s_barrier
	ds_read2_b64 v[4:7], v160 offset1:81
	ds_read2_b64 v[200:203], v163 offset0:68 offset1:149
	ds_read2_b64 v[244:247], v251 offset0:102 offset1:183
	;; [unrolled: 1-line block ×9, first 2 shown]
	s_waitcnt lgkmcnt(4)
	v_mov_b32_e32 v12, v208
	v_mov_b32_e32 v14, v204
	s_waitcnt lgkmcnt(2)
	v_mov_b32_e32 v13, v212
	v_pk_add_f32 v[16:17], v[246:247], v[250:251] neg_lo:[0,1] neg_hi:[0,1]
	s_waitcnt lgkmcnt(0)
	v_pk_add_f32 v[10:11], v[204:205], v[216:217]
	v_mov_b32_e32 v15, v216
	v_fma_f32 v31, -0.5, v10, v200
	v_pk_add_f32 v[12:13], v[12:13], v[14:15] neg_lo:[0,1] neg_hi:[0,1]
	v_fma_f32 v39, -0.5, v11, v201
	v_mov_b32_e32 v10, v209
	v_mov_b32_e32 v11, v213
	;; [unrolled: 1-line block ×4, first 2 shown]
	v_pk_add_f32 v[10:11], v[10:11], v[14:15] neg_lo:[0,1] neg_hi:[0,1]
	v_pk_add_f32 v[14:15], v[250:251], v[254:255] neg_lo:[0,1] neg_hi:[0,1]
	v_add_f32_e32 v43, v10, v11
	v_pk_add_f32 v[10:11], v[250:251], v[254:255]
	v_pk_add_f32 v[24:25], v[2:3], v[254:255] neg_lo:[0,1] neg_hi:[0,1]
	v_pk_fma_f32 v[18:19], v[10:11], 0.5, v[6:7] op_sel_hi:[1,0,1] neg_lo:[1,0,0] neg_hi:[1,0,0]
	v_pk_add_f32 v[10:11], v[246:247], v[2:3] neg_lo:[0,1] neg_hi:[0,1]
	v_pk_mul_f32 v[22:23], v[14:15], s[4:5] op_sel_hi:[1,0]
	v_pk_mul_f32 v[20:21], v[10:11], s[10:11] op_sel_hi:[1,0]
	v_pk_add_f32 v[16:17], v[16:17], v[24:25]
	v_pk_add_f32 v[24:25], v[18:19], v[20:21] op_sel:[0,1] op_sel_hi:[1,0] neg_lo:[0,1] neg_hi:[0,1]
	v_pk_add_f32 v[18:19], v[18:19], v[20:21] op_sel:[0,1] op_sel_hi:[1,0]
	v_add_f32_e32 v35, v12, v13
	v_pk_add_f32 v[12:13], v[200:201], v[204:205]
	v_pk_add_f32 v[20:21], v[18:19], v[22:23] op_sel:[0,1] op_sel_hi:[1,0]
	v_pk_add_f32 v[26:27], v[24:25], v[22:23] op_sel:[0,1] op_sel_hi:[1,0] neg_lo:[0,1] neg_hi:[0,1]
	v_pk_add_f32 v[22:23], v[208:209], v[212:213]
	v_pk_add_f32 v[24:25], v[204:205], v[216:217] neg_lo:[0,1] neg_hi:[0,1]
	v_pk_add_f32 v[12:13], v[12:13], v[208:209]
	v_pk_fma_f32 v[22:23], v[22:23], 0.5, v[200:201] op_sel_hi:[1,0,1] neg_lo:[1,0,0] neg_hi:[1,0,0]
	v_pk_mul_f32 v[52:53], v[24:25], s[10:11] op_sel_hi:[1,0]
	v_pk_add_f32 v[222:223], v[208:209], v[212:213] neg_lo:[0,1] neg_hi:[0,1]
	v_pk_add_f32 v[12:13], v[12:13], v[212:213]
	v_pk_add_f32 v[200:201], v[22:23], v[52:53] op_sel:[0,1] op_sel_hi:[1,0]
	v_pk_mul_f32 v[224:225], v[222:223], s[4:5] op_sel_hi:[1,0]
	v_pk_add_f32 v[204:205], v[204:205], v[208:209] neg_lo:[0,1] neg_hi:[0,1]
	v_pk_add_f32 v[208:209], v[216:217], v[212:213] neg_lo:[0,1] neg_hi:[0,1]
	v_mov_b32_e32 v212, v25
	v_mov_b32_e32 v213, v223
	v_pk_add_f32 v[22:23], v[22:23], v[52:53] op_sel:[0,1] op_sel_hi:[1,0] neg_lo:[0,1] neg_hi:[0,1]
	v_pk_add_f32 v[200:201], v[224:225], v[200:201] op_sel:[1,0] op_sel_hi:[0,1]
	v_pk_add_f32 v[204:205], v[204:205], v[208:209]
	v_pk_mul_f32 v[212:213], v[212:213], s[18:19]
	v_pk_add_f32 v[22:23], v[22:23], v[224:225] op_sel:[0,1] op_sel_hi:[1,0] neg_lo:[0,1] neg_hi:[0,1]
	v_mov_b32_e32 v19, v21
	v_pk_fma_f32 v[208:209], v[204:205], s[8:9], v[200:201] op_sel_hi:[1,0,1]
	v_add_f32_e32 v21, v213, v31
	v_mov_b32_e32 v200, v22
	v_mov_b32_e32 v223, v24
	s_mov_b32 s11, s4
	v_mov_b32_e32 v18, v26
	v_sub_f32_e32 v26, v21, v212
	v_sub_f32_e32 v21, v31, v213
	v_pk_fma_f32 v[52:53], v[204:205], s[8:9], v[200:201] op_sel_hi:[1,0,1]
	v_pk_fma_f32 v[200:201], v[204:205], s[8:9], v[22:23] op_sel_hi:[1,0,1]
	v_pk_mul_f32 v[22:23], v[222:223], s[10:11]
	v_add_f32_e32 v212, v212, v21
	v_sub_f32_e32 v21, v39, v22
	v_add_f32_e32 v24, v23, v21
	v_add_f32_e32 v21, v22, v39
	v_pk_add_f32 v[8:9], v[6:7], v[246:247]
	v_sub_f32_e32 v204, v21, v23
	v_pk_mul_f32 v[22:23], v[52:53], s[4:5] op_sel_hi:[1,0]
	v_pk_add_f32 v[8:9], v[8:9], v[250:251]
	v_pk_add_f32 v[12:13], v[12:13], v[216:217]
	v_pk_fma_f32 v[216:217], v[52:53], s[16:17], v[22:23] op_sel:[0,0,1] op_sel_hi:[1,0,0] neg_lo:[0,0,1] neg_hi:[0,0,1]
	v_pk_fma_f32 v[22:23], v[52:53], s[16:17], v[22:23] op_sel:[0,0,1] op_sel_hi:[1,0,0]
	v_pk_add_f32 v[8:9], v[8:9], v[254:255]
	v_mov_b32_e32 v217, v23
	v_pk_add_f32 v[22:23], v[246:247], v[2:3]
	v_pk_add_f32 v[8:9], v[8:9], v[2:3]
	v_pk_fma_f32 v[6:7], v[22:23], 0.5, v[6:7] op_sel_hi:[1,0,1] neg_lo:[1,0,0] neg_hi:[1,0,0]
	v_pk_add_f32 v[22:23], v[250:251], v[246:247] neg_lo:[0,1] neg_hi:[0,1]
	v_pk_add_f32 v[2:3], v[254:255], v[2:3] neg_lo:[0,1] neg_hi:[0,1]
	v_pk_mul_f32 v[14:15], v[14:15], s[10:11] op_sel_hi:[1,0]
	v_pk_add_f32 v[2:3], v[22:23], v[2:3]
	v_pk_mul_f32 v[10:11], v[10:11], s[4:5] op_sel_hi:[1,0]
	v_pk_add_f32 v[22:23], v[6:7], v[14:15] op_sel:[0,1] op_sel_hi:[1,0]
	v_pk_add_f32 v[6:7], v[6:7], v[14:15] op_sel:[0,1] op_sel_hi:[1,0] neg_lo:[0,1] neg_hi:[0,1]
	v_fmac_f32_e32 v24, 0x3e9e377a, v43
	v_pk_add_f32 v[6:7], v[6:7], v[10:11] op_sel:[0,1] op_sel_hi:[1,0]
	v_pk_add_f32 v[10:11], v[22:23], v[10:11] op_sel:[0,1] op_sel_hi:[1,0] neg_lo:[0,1] neg_hi:[0,1]
	v_mov_b32_e32 v15, v7
	v_mov_b32_e32 v14, v10
	v_pk_fma_f32 v[18:19], v[16:17], s[8:9], v[18:19] op_sel_hi:[1,0,1]
	v_fmac_f32_e32 v26, 0x3e9e377a, v35
	v_pk_fma_f32 v[52:53], v[2:3], s[8:9], v[14:15] op_sel_hi:[1,0,1]
	s_mov_b32 s9, s10
	v_pk_mul_f32 v[14:15], v[24:25], s[6:7] op_sel_hi:[0,1]
	v_pk_fma_f32 v[224:225], v[26:27], s[8:9], v[14:15] neg_lo:[0,0,1] neg_hi:[0,0,1]
	v_pk_fma_f32 v[14:15], v[26:27], s[8:9], v[14:15] op_sel_hi:[0,1,1]
	v_fmac_f32_e32 v204, 0x3e9e377a, v43
	v_mov_b32_e32 v225, v15
	v_mov_b32_e32 v7, v11
	;; [unrolled: 1-line block ×3, first 2 shown]
	v_pk_mul_f32 v[10:11], v[200:201], s[4:5] op_sel:[1,0]
	v_fmac_f32_e32 v212, 0x3e9e377a, v35
	v_pk_add_f32 v[22:23], v[52:53], v[224:225]
	v_pk_mul_f32 v[14:15], v[204:205], s[6:7] op_sel_hi:[0,1]
	v_pk_fma_f32 v[2:3], v[2:3], s[8:9], v[6:7] op_sel_hi:[1,0,1]
	v_pk_fma_f32 v[6:7], v[16:17], s[8:9], v[20:21] op_sel_hi:[1,0,1]
	v_pk_fma_f32 v[20:21], v[208:209], s[12:13], v[10:11] op_sel_hi:[0,1,1] neg_lo:[0,0,1] neg_hi:[0,0,1]
	v_pk_add_f32 v[16:17], v[52:53], v[224:225] neg_lo:[0,1] neg_hi:[0,1]
	ds_read2_b64 v[240:243], v160 offset0:162 offset1:243
	ds_read2_b64 v[232:235], v124 offset0:136 offset1:217
	;; [unrolled: 1-line block ×5, first 2 shown]
	v_pk_add_f32 v[220:221], v[8:9], v[12:13]
	v_pk_fma_f32 v[204:205], v[212:213], s[14:15], v[14:15] op_sel_hi:[0,1,1] neg_lo:[0,0,1] neg_hi:[0,0,1]
	v_pk_add_f32 v[10:11], v[6:7], v[20:21]
	v_pk_add_f32 v[12:13], v[8:9], v[12:13] neg_lo:[0,1] neg_hi:[0,1]
	v_pk_add_f32 v[20:21], v[6:7], v[20:21] neg_lo:[0,1] neg_hi:[0,1]
	v_mov_b32_e32 v6, v210
	v_mov_b32_e32 v7, v214
	;; [unrolled: 1-line block ×4, first 2 shown]
	v_pk_add_f32 v[222:223], v[18:19], v[216:217]
	v_pk_add_f32 v[24:25], v[2:3], v[204:205]
	v_pk_add_f32 v[14:15], v[18:19], v[216:217] neg_lo:[0,1] neg_hi:[0,1]
	v_pk_add_f32 v[18:19], v[2:3], v[204:205] neg_lo:[0,1] neg_hi:[0,1]
	s_waitcnt lgkmcnt(3)
	v_pk_add_f32 v[2:3], v[240:241], v[232:233]
	v_pk_add_f32 v[6:7], v[6:7], v[8:9] neg_lo:[0,1] neg_hi:[0,1]
	s_waitcnt lgkmcnt(2)
	v_pk_add_f32 v[2:3], v[2:3], v[236:237]
	v_add_f32_e32 v43, v6, v7
	v_pk_add_f32 v[6:7], v[202:203], v[206:207]
	s_waitcnt lgkmcnt(1)
	v_pk_add_f32 v[2:3], v[2:3], v[224:225]
	v_pk_add_f32 v[6:7], v[6:7], v[210:211]
	s_waitcnt lgkmcnt(0)
	v_pk_add_f32 v[52:53], v[2:3], v[228:229]
	v_pk_add_f32 v[2:3], v[206:207], v[218:219]
	;; [unrolled: 1-line block ×3, first 2 shown]
	v_fma_f32 v35, -0.5, v2, v202
	v_pk_add_f32 v[26:27], v[6:7], v[218:219]
	v_fma_f32 v31, -0.5, v3, v203
	v_mov_b32_e32 v2, v211
	v_mov_b32_e32 v3, v215
	;; [unrolled: 1-line block ×4, first 2 shown]
	v_pk_add_f32 v[2:3], v[2:3], v[6:7] neg_lo:[0,1] neg_hi:[0,1]
	v_mov_b32_e32 v6, v238
	v_mov_b32_e32 v7, v226
	;; [unrolled: 1-line block ×4, first 2 shown]
	v_add_f32_e32 v39, v2, v3
	v_pk_add_f32 v[2:3], v[4:5], v[244:245]
	v_pk_add_f32 v[6:7], v[6:7], v[8:9] neg_lo:[0,1] neg_hi:[0,1]
	v_pk_add_f32 v[2:3], v[2:3], v[248:249]
	v_add_f32_e32 v51, v6, v7
	v_pk_add_f32 v[6:7], v[242:243], v[234:235]
	v_pk_add_f32 v[2:3], v[2:3], v[252:253]
	;; [unrolled: 1-line block ×6, first 2 shown]
	v_fma_f32 v47, -0.5, v2, v242
	v_pk_add_f32 v[208:209], v[6:7], v[230:231]
	v_fma_f32 v63, -0.5, v3, v243
	v_mov_b32_e32 v2, v239
	v_mov_b32_e32 v3, v227
	;; [unrolled: 1-line block ×4, first 2 shown]
	v_pk_add_f32 v[2:3], v[2:3], v[6:7] neg_lo:[0,1] neg_hi:[0,1]
	v_pk_add_f32 v[212:213], v[244:245], v[0:1] neg_lo:[0,1] neg_hi:[0,1]
	v_add_f32_e32 v67, v2, v3
	v_pk_add_f32 v[2:3], v[248:249], v[252:253]
	v_pk_mul_f32 v[246:247], v[212:213], s[10:11] op_sel_hi:[1,0]
	v_pk_fma_f32 v[8:9], v[2:3], 0.5, v[4:5] op_sel_hi:[1,0,1] neg_lo:[1,0,0] neg_hi:[1,0,0]
	v_pk_add_f32 v[216:217], v[248:249], v[252:253] neg_lo:[0,1] neg_hi:[0,1]
	v_pk_add_f32 v[250:251], v[244:245], v[248:249] neg_lo:[0,1] neg_hi:[0,1]
	v_pk_mul_f32 v[2:3], v[216:217], s[4:5] op_sel_hi:[1,0]
	v_pk_add_f32 v[254:255], v[0:1], v[252:253] neg_lo:[0,1] neg_hi:[0,1]
	v_pk_add_f32 v[54:55], v[8:9], v[246:247] op_sel:[0,1] op_sel_hi:[1,0] neg_lo:[0,1] neg_hi:[0,1]
	v_pk_add_f32 v[8:9], v[8:9], v[246:247] op_sel:[0,1] op_sel_hi:[1,0]
	v_pk_add_f32 v[250:251], v[250:251], v[254:255]
	v_pk_add_f32 v[254:255], v[8:9], v[2:3] op_sel:[0,1] op_sel_hi:[1,0]
	v_pk_add_f32 v[2:3], v[54:55], v[2:3] op_sel:[0,1] op_sel_hi:[1,0] neg_lo:[0,1] neg_hi:[0,1]
	v_mov_b32_e32 v9, v255
	v_mov_b32_e32 v8, v2
	v_pk_add_f32 v[54:55], v[234:235], v[230:231] neg_lo:[0,1] neg_hi:[0,1]
	v_pk_add_f32 v[124:125], v[238:239], v[226:227] neg_lo:[0,1] neg_hi:[0,1]
	v_pk_fma_f32 v[246:247], v[250:251], s[8:9], v[8:9] op_sel_hi:[1,0,1]
	v_pk_add_f32 v[8:9], v[238:239], v[226:227]
	v_pk_add_f32 v[226:227], v[230:231], v[226:227] neg_lo:[0,1] neg_hi:[0,1]
	v_mov_b32_e32 v230, v125
	v_mov_b32_e32 v231, v55
	v_pk_fma_f32 v[8:9], v[8:9], 0.5, v[242:243] op_sel_hi:[1,0,1] neg_lo:[1,0,0] neg_hi:[1,0,0]
	v_pk_mul_f32 v[242:243], v[54:55], s[10:11] op_sel_hi:[1,0]
	v_pk_add_f32 v[162:163], v[234:235], v[238:239] neg_lo:[0,1] neg_hi:[0,1]
	v_pk_mul_f32 v[234:235], v[230:231], s[10:11]
	v_pk_add_f32 v[126:127], v[8:9], v[242:243] op_sel:[0,1] op_sel_hi:[1,0]
	v_pk_mul_f32 v[58:59], v[124:125], s[4:5] op_sel_hi:[1,0]
	v_add_f32_e32 v2, v234, v47
	v_pk_add_f32 v[8:9], v[8:9], v[242:243] op_sel:[0,1] op_sel_hi:[1,0] neg_lo:[0,1] neg_hi:[0,1]
	v_pk_add_f32 v[126:127], v[58:59], v[126:127] op_sel:[1,0] op_sel_hi:[0,1]
	v_pk_add_f32 v[162:163], v[162:163], v[226:227]
	v_sub_f32_e32 v230, v2, v235
	v_sub_f32_e32 v2, v47, v234
	v_pk_add_f32 v[8:9], v[8:9], v[58:59] op_sel:[0,1] op_sel_hi:[1,0] neg_lo:[0,1] neg_hi:[0,1]
	v_mov_b32_e32 v55, v124
	v_pk_fma_f32 v[226:227], v[162:163], s[8:9], v[126:127] op_sel_hi:[1,0,1]
	v_add_f32_e32 v2, v235, v2
	v_mov_b32_e32 v126, v8
	v_pk_fma_f32 v[234:235], v[162:163], s[8:9], v[8:9] op_sel_hi:[1,0,1]
	v_pk_mul_f32 v[8:9], v[54:55], s[18:19]
	v_pk_fma_f32 v[58:59], v[162:163], s[8:9], v[126:127] op_sel_hi:[1,0,1]
	v_sub_f32_e32 v47, v63, v9
	v_add_f32_e32 v9, v9, v63
	v_add_f32_e32 v54, v8, v47
	v_sub_f32_e32 v124, v9, v8
	v_pk_mul_f32 v[8:9], v[58:59], s[4:5] op_sel_hi:[1,0]
	v_pk_add_f32 v[6:7], v[204:205], v[208:209]
	v_pk_fma_f32 v[238:239], v[58:59], s[16:17], v[8:9] op_sel:[0,0,1] op_sel_hi:[1,0,0] neg_lo:[0,0,1] neg_hi:[0,0,1]
	v_pk_fma_f32 v[8:9], v[58:59], s[16:17], v[8:9] op_sel:[0,0,1] op_sel_hi:[1,0,0]
	v_accvgpr_read_b32 v47, a73
	v_mov_b32_e32 v239, v9
	v_pk_add_f32 v[8:9], v[246:247], v[238:239]
	s_barrier
	ds_write_b128 v47, v[6:9]
	v_pk_add_f32 v[6:7], v[244:245], v[0:1]
	v_pk_add_f32 v[0:1], v[252:253], v[0:1] neg_lo:[0,1] neg_hi:[0,1]
	v_pk_fma_f32 v[4:5], v[6:7], 0.5, v[4:5] op_sel_hi:[1,0,1] neg_lo:[1,0,0] neg_hi:[1,0,0]
	v_pk_add_f32 v[6:7], v[248:249], v[244:245] neg_lo:[0,1] neg_hi:[0,1]
	v_pk_mul_f32 v[8:9], v[212:213], s[4:5] op_sel_hi:[1,0]
	v_pk_add_f32 v[0:1], v[6:7], v[0:1]
	v_pk_mul_f32 v[6:7], v[216:217], s[10:11] op_sel_hi:[1,0]
	v_fmac_f32_e32 v54, 0x3e9e377a, v67
	v_pk_add_f32 v[58:59], v[4:5], v[6:7] op_sel:[0,1] op_sel_hi:[1,0]
	v_pk_add_f32 v[4:5], v[4:5], v[6:7] op_sel:[0,1] op_sel_hi:[1,0] neg_lo:[0,1] neg_hi:[0,1]
	v_fmac_f32_e32 v230, 0x3e9e377a, v51
	v_pk_add_f32 v[6:7], v[4:5], v[8:9] op_sel:[0,1] op_sel_hi:[1,0]
	v_pk_add_f32 v[8:9], v[58:59], v[8:9] op_sel:[0,1] op_sel_hi:[1,0] neg_lo:[0,1] neg_hi:[0,1]
	v_mov_b32_e32 v5, v7
	v_mov_b32_e32 v4, v8
	v_fmac_f32_e32 v124, 0x3e9e377a, v67
	v_pk_fma_f32 v[58:59], v[0:1], s[8:9], v[4:5] op_sel_hi:[1,0,1]
	v_pk_mul_f32 v[4:5], v[54:55], s[6:7] op_sel_hi:[0,1]
	v_fmac_f32_e32 v2, 0x3e9e377a, v51
	v_pk_fma_f32 v[54:55], v[230:231], s[8:9], v[4:5] neg_lo:[0,0,1] neg_hi:[0,0,1]
	v_pk_fma_f32 v[4:5], v[230:231], s[8:9], v[4:5] op_sel_hi:[0,1,1]
	v_pk_mul_f32 v[124:125], v[124:125], s[6:7] op_sel_hi:[0,1]
	v_mov_b32_e32 v7, v9
	v_mov_b32_e32 v55, v5
	v_pk_fma_f32 v[124:125], v[2:3], s[14:15], v[124:125] op_sel_hi:[0,1,1] neg_lo:[0,0,1] neg_hi:[0,0,1]
	v_pk_fma_f32 v[8:9], v[0:1], s[8:9], v[6:7] op_sel_hi:[1,0,1]
	v_pk_add_f32 v[4:5], v[58:59], v[54:55]
	v_pk_add_f32 v[6:7], v[8:9], v[124:125]
	v_mov_b32_e32 v255, v3
	v_pk_mul_f32 v[0:1], v[234:235], s[4:5] op_sel:[1,0]
	ds_write_b128 v47, v[4:7] offset:16
	v_pk_fma_f32 v[4:5], v[250:251], s[8:9], v[254:255] op_sel_hi:[1,0,1]
	v_pk_fma_f32 v[6:7], v[226:227], s[12:13], v[0:1] op_sel_hi:[0,1,1] neg_lo:[0,0,1] neg_hi:[0,0,1]
	v_pk_add_f32 v[0:1], v[4:5], v[6:7]
	v_pk_add_f32 v[2:3], v[204:205], v[208:209] neg_lo:[0,1] neg_hi:[0,1]
	ds_write_b128 v47, v[0:3] offset:32
	v_pk_add_f32 v[0:1], v[246:247], v[238:239] neg_lo:[0,1] neg_hi:[0,1]
	v_pk_add_f32 v[2:3], v[58:59], v[54:55] neg_lo:[0,1] neg_hi:[0,1]
	ds_write_b128 v47, v[0:3] offset:48
	v_pk_add_f32 v[0:1], v[8:9], v[124:125] neg_lo:[0,1] neg_hi:[0,1]
	v_pk_add_f32 v[2:3], v[4:5], v[6:7] neg_lo:[0,1] neg_hi:[0,1]
	ds_write_b128 v47, v[0:3] offset:64
	v_accvgpr_read_b32 v0, a68
	ds_write_b128 v0, v[220:223]
	ds_write_b128 v0, v[22:25] offset:16
	ds_write_b128 v0, v[10:13] offset:32
	ds_write_b128 v0, v[14:17] offset:48
	ds_write_b128 v0, v[18:21] offset:64
	v_pk_add_f32 v[0:1], v[236:237], v[224:225]
	v_pk_add_f32 v[20:21], v[232:233], v[228:229] neg_lo:[0,1] neg_hi:[0,1]
	v_pk_fma_f32 v[0:1], v[0:1], 0.5, v[240:241] op_sel_hi:[1,0,1] neg_lo:[1,0,0] neg_hi:[1,0,0]
	v_pk_mul_f32 v[2:3], v[20:21], s[10:11] op_sel_hi:[1,0]
	v_pk_add_f32 v[16:17], v[206:207], v[218:219] neg_lo:[0,1] neg_hi:[0,1]
	v_pk_add_f32 v[10:11], v[0:1], v[2:3] op_sel:[0,1] op_sel_hi:[1,0] neg_lo:[0,1] neg_hi:[0,1]
	v_pk_add_f32 v[0:1], v[0:1], v[2:3] op_sel:[0,1] op_sel_hi:[1,0]
	v_pk_add_f32 v[2:3], v[210:211], v[214:215]
	v_pk_add_f32 v[22:23], v[236:237], v[224:225] neg_lo:[0,1] neg_hi:[0,1]
	v_pk_fma_f32 v[12:13], v[2:3], 0.5, v[202:203] op_sel_hi:[1,0,1] neg_lo:[1,0,0] neg_hi:[1,0,0]
	v_pk_mul_f32 v[14:15], v[16:17], s[10:11] op_sel_hi:[1,0]
	v_pk_add_f32 v[18:19], v[210:211], v[214:215] neg_lo:[0,1] neg_hi:[0,1]
	v_pk_mul_f32 v[8:9], v[22:23], s[4:5] op_sel_hi:[1,0]
	v_pk_add_f32 v[4:5], v[232:233], v[236:237] neg_lo:[0,1] neg_hi:[0,1]
	v_pk_add_f32 v[6:7], v[228:229], v[224:225] neg_lo:[0,1] neg_hi:[0,1]
	v_pk_add_f32 v[2:3], v[12:13], v[14:15] op_sel:[0,1] op_sel_hi:[1,0]
	v_pk_mul_f32 v[24:25], v[18:19], s[4:5] op_sel_hi:[1,0]
	v_pk_add_f32 v[4:5], v[4:5], v[6:7]
	v_pk_add_f32 v[6:7], v[0:1], v[8:9] op_sel:[0,1] op_sel_hi:[1,0]
	v_pk_add_f32 v[8:9], v[10:11], v[8:9] op_sel:[0,1] op_sel_hi:[1,0] neg_lo:[0,1] neg_hi:[0,1]
	v_pk_add_f32 v[54:55], v[24:25], v[2:3] op_sel:[1,0] op_sel_hi:[0,1]
	v_pk_add_f32 v[2:3], v[206:207], v[210:211] neg_lo:[0,1] neg_hi:[0,1]
	v_pk_add_f32 v[10:11], v[218:219], v[214:215] neg_lo:[0,1] neg_hi:[0,1]
	v_pk_add_f32 v[12:13], v[12:13], v[14:15] op_sel:[0,1] op_sel_hi:[1,0] neg_lo:[0,1] neg_hi:[0,1]
	v_pk_add_f32 v[58:59], v[2:3], v[10:11]
	v_mov_b32_e32 v2, v19
	v_mov_b32_e32 v3, v17
	v_pk_mul_f32 v[124:125], v[2:3], s[10:11]
	v_pk_add_f32 v[12:13], v[12:13], v[24:25] op_sel:[0,1] op_sel_hi:[1,0] neg_lo:[0,1] neg_hi:[0,1]
	v_mov_b32_e32 v17, v18
	v_pk_fma_f32 v[10:11], v[58:59], s[8:9], v[54:55] op_sel_hi:[1,0,1]
	v_sub_f32_e32 v3, v35, v124
	v_mov_b32_e32 v54, v12
	v_pk_fma_f32 v[14:15], v[58:59], s[8:9], v[12:13] op_sel_hi:[1,0,1]
	v_pk_mul_f32 v[12:13], v[16:17], s[18:19]
	v_mov_b32_e32 v0, v8
	v_add_f32_e32 v8, v125, v3
	v_pk_fma_f32 v[24:25], v[58:59], s[8:9], v[54:55] op_sel_hi:[1,0,1]
	v_sub_f32_e32 v3, v31, v13
	v_add_f32_e32 v18, v12, v3
	v_add_f32_e32 v3, v13, v31
	v_pk_mul_f32 v[54:55], v[24:25], s[4:5] op_sel_hi:[1,0]
	v_sub_f32_e32 v16, v3, v12
	v_pk_fma_f32 v[12:13], v[24:25], s[16:17], v[54:55] op_sel:[0,0,1] op_sel_hi:[1,0,0] neg_lo:[0,0,1] neg_hi:[0,0,1]
	v_pk_fma_f32 v[24:25], v[24:25], s[16:17], v[54:55] op_sel:[0,0,1] op_sel_hi:[1,0,0]
	v_add_f32_e32 v2, v124, v35
	v_mov_b32_e32 v13, v25
	v_pk_add_f32 v[24:25], v[232:233], v[228:229]
	v_sub_f32_e32 v2, v2, v125
	v_fmac_f32_e32 v18, 0x3e9e377a, v39
	v_pk_fma_f32 v[24:25], v[24:25], 0.5, v[240:241] op_sel_hi:[1,0,1] neg_lo:[1,0,0] neg_hi:[1,0,0]
	v_pk_add_f32 v[54:55], v[236:237], v[232:233] neg_lo:[0,1] neg_hi:[0,1]
	v_pk_add_f32 v[58:59], v[224:225], v[228:229] neg_lo:[0,1] neg_hi:[0,1]
	v_pk_mul_f32 v[22:23], v[22:23], s[10:11] op_sel_hi:[1,0]
	v_fmac_f32_e32 v2, 0x3e9e377a, v43
	v_pk_add_f32 v[54:55], v[54:55], v[58:59]
	v_pk_mul_f32 v[20:21], v[20:21], s[4:5] op_sel_hi:[1,0]
	v_pk_add_f32 v[58:59], v[24:25], v[22:23] op_sel:[0,1] op_sel_hi:[1,0]
	v_pk_add_f32 v[22:23], v[24:25], v[22:23] op_sel:[0,1] op_sel_hi:[1,0] neg_lo:[0,1] neg_hi:[0,1]
	v_pk_mul_f32 v[18:19], v[18:19], s[6:7] op_sel_hi:[0,1]
	v_fmac_f32_e32 v16, 0x3e9e377a, v39
	v_pk_add_f32 v[22:23], v[22:23], v[20:21] op_sel:[0,1] op_sel_hi:[1,0]
	v_pk_add_f32 v[20:21], v[58:59], v[20:21] op_sel:[0,1] op_sel_hi:[1,0] neg_lo:[0,1] neg_hi:[0,1]
	v_pk_fma_f32 v[58:59], v[2:3], s[8:9], v[18:19] neg_lo:[0,0,1] neg_hi:[0,0,1]
	v_pk_fma_f32 v[2:3], v[2:3], s[8:9], v[18:19] op_sel_hi:[0,1,1]
	v_fmac_f32_e32 v8, 0x3e9e377a, v43
	v_mov_b32_e32 v59, v3
	v_pk_mul_f32 v[2:3], v[16:17], s[6:7] op_sel_hi:[0,1]
	v_mov_b32_e32 v1, v7
	v_pk_fma_f32 v[16:17], v[8:9], s[14:15], v[2:3] op_sel_hi:[0,1,1] neg_lo:[0,0,1] neg_hi:[0,0,1]
	v_mov_b32_e32 v7, v9
	v_pk_mul_f32 v[2:3], v[14:15], s[4:5] op_sel:[1,0]
	v_mov_b32_e32 v24, v20
	v_mov_b32_e32 v25, v23
	v_pk_fma_f32 v[6:7], v[4:5], s[8:9], v[6:7] op_sel_hi:[1,0,1]
	v_pk_fma_f32 v[8:9], v[10:11], s[12:13], v[2:3] op_sel_hi:[0,1,1] neg_lo:[0,0,1] neg_hi:[0,0,1]
	v_pk_fma_f32 v[0:1], v[4:5], s[8:9], v[0:1] op_sel_hi:[1,0,1]
	v_accvgpr_read_b32 v31, a69
	v_pk_fma_f32 v[24:25], v[54:55], s[8:9], v[24:25] op_sel_hi:[1,0,1]
	v_mov_b32_e32 v23, v21
	v_pk_add_f32 v[2:3], v[6:7], v[8:9]
	v_pk_add_f32 v[4:5], v[52:53], v[26:27] neg_lo:[0,1] neg_hi:[0,1]
	v_pk_add_f32 v[202:203], v[0:1], v[12:13]
	v_pk_fma_f32 v[22:23], v[54:55], s[8:9], v[22:23] op_sel_hi:[1,0,1]
	ds_write_b128 v31, v[2:5] offset:32
	v_accvgpr_read_b32 v4, a69
	v_pk_add_f32 v[0:1], v[0:1], v[12:13] neg_lo:[0,1] neg_hi:[0,1]
	v_pk_add_f32 v[2:3], v[24:25], v[58:59] neg_lo:[0,1] neg_hi:[0,1]
	v_pk_add_f32 v[200:201], v[52:53], v[26:27]
	v_pk_add_f32 v[18:19], v[24:25], v[58:59]
	;; [unrolled: 1-line block ×3, first 2 shown]
	ds_write_b128 v4, v[0:3] offset:48
	v_pk_add_f32 v[0:1], v[22:23], v[16:17] neg_lo:[0,1] neg_hi:[0,1]
	v_pk_add_f32 v[2:3], v[6:7], v[8:9] neg_lo:[0,1] neg_hi:[0,1]
	ds_write_b128 v31, v[200:203]
	ds_write_b128 v31, v[18:21] offset:16
	ds_write_b128 v4, v[0:3] offset:64
	s_waitcnt lgkmcnt(0)
	s_barrier
	ds_read2_b64 v[0:3], v107 offset0:136 offset1:217
	ds_read2_b64 v[4:7], v139 offset0:50 offset1:131
	;; [unrolled: 1-line block ×3, first 2 shown]
	v_accvgpr_read_b32 v126, a86
	v_accvgpr_read_b32 v125, a85
	;; [unrolled: 1-line block ×3, first 2 shown]
	s_waitcnt lgkmcnt(1)
	v_pk_mul_f32 v[12:13], v[36:37], v[6:7] op_sel:[1,0]
	v_accvgpr_read_b32 v252, a118
	v_pk_fma_f32 v[20:21], v[36:37], v[6:7], v[12:13] op_sel:[0,0,1] op_sel_hi:[1,1,0]
	v_pk_fma_f32 v[6:7], v[36:37], v[6:7], v[12:13] op_sel:[0,0,1] op_sel_hi:[0,1,0] neg_lo:[0,0,1] neg_hi:[0,0,1]
	v_accvgpr_read_b32 v6, a76
	v_mov_b32_e32 v21, v7
	s_waitcnt lgkmcnt(0)
	v_pk_mul_f32 v[6:7], v[6:7], v[10:11] op_sel_hi:[0,1]
	v_pk_fma_f32 v[16:17], v[38:39], v[10:11], v[6:7] op_sel:[0,0,1] op_sel_hi:[1,1,0]
	v_pk_fma_f32 v[6:7], v[38:39], v[10:11], v[6:7] op_sel:[0,0,1] op_sel_hi:[0,1,0] neg_lo:[0,0,1] neg_hi:[0,0,1]
	v_mov_b32_e32 v17, v7
	v_pk_add_f32 v[6:7], v[20:21], v[16:17]
	v_pk_add_f32 v[10:11], v[20:21], v[16:17] neg_lo:[0,1] neg_hi:[0,1]
	v_pk_fma_f32 v[6:7], v[6:7], 0.5, v[2:3] op_sel_hi:[1,0,1] neg_lo:[1,0,0] neg_hi:[1,0,0]
	v_pk_mul_f32 v[10:11], v[10:11], s[2:3] op_sel_hi:[1,0]
	v_accvgpr_read_b32 v251, a117
	v_pk_add_f32 v[18:19], v[6:7], v[10:11] op_sel:[0,1] op_sel_hi:[1,0]
	v_pk_add_f32 v[22:23], v[6:7], v[10:11] op_sel:[0,1] op_sel_hi:[1,0] neg_lo:[0,1] neg_hi:[0,1]
	v_accvgpr_read_b32 v10, a78
	v_accvgpr_read_b32 v11, a79
	v_pk_mul_f32 v[6:7], v[10:11], v[4:5] op_sel:[1,0]
	v_accvgpr_read_b32 v12, a80
	v_pk_fma_f32 v[24:25], v[10:11], v[4:5], v[6:7] op_sel:[0,0,1] op_sel_hi:[1,1,0]
	v_pk_fma_f32 v[4:5], v[10:11], v[4:5], v[6:7] op_sel:[0,0,1] op_sel_hi:[0,1,0] neg_lo:[0,0,1] neg_hi:[0,0,1]
	v_accvgpr_read_b32 v4, a82
	v_mov_b32_e32 v25, v5
	v_pk_mul_f32 v[4:5], v[4:5], v[8:9] op_sel_hi:[0,1]
	v_pk_fma_f32 v[26:27], v[12:13], v[8:9], v[4:5] op_sel:[0,0,1] op_sel_hi:[1,1,0]
	v_pk_fma_f32 v[4:5], v[12:13], v[8:9], v[4:5] op_sel:[0,0,1] op_sel_hi:[0,1,0] neg_lo:[0,0,1] neg_hi:[0,0,1]
	v_mov_b32_e32 v27, v5
	v_pk_add_f32 v[4:5], v[24:25], v[26:27]
	v_pk_add_f32 v[6:7], v[24:25], v[26:27] neg_lo:[0,1] neg_hi:[0,1]
	v_pk_fma_f32 v[4:5], v[4:5], 0.5, v[0:1] op_sel_hi:[1,0,1] neg_lo:[1,0,0] neg_hi:[1,0,0]
	v_pk_mul_f32 v[6:7], v[6:7], s[2:3] op_sel_hi:[1,0]
	v_accvgpr_read_b32 v250, a116
	v_pk_add_f32 v[36:37], v[4:5], v[6:7] op_sel:[0,1] op_sel_hi:[1,0]
	v_pk_add_f32 v[38:39], v[4:5], v[6:7] op_sel:[0,1] op_sel_hi:[1,0] neg_lo:[0,1] neg_hi:[0,1]
	ds_read2_b64 v[4:7], v159 offset0:102 offset1:183
	ds_read2_b64 v[8:11], v161 offset0:16 offset1:97
	;; [unrolled: 1-line block ×3, first 2 shown]
	v_accvgpr_read_b32 v31, a81
	v_pk_add_f32 v[0:1], v[0:1], v[24:25]
	v_mov_b32_e32 v47, v91
	s_waitcnt lgkmcnt(1)
	v_pk_mul_f32 v[52:53], v[124:125], v[10:11] op_sel:[1,0]
	v_pk_add_f32 v[0:1], v[0:1], v[26:27]
	v_pk_fma_f32 v[204:205], v[124:125], v[10:11], v[52:53] op_sel:[0,0,1] op_sel_hi:[1,1,0]
	v_pk_fma_f32 v[10:11], v[124:125], v[10:11], v[52:53] op_sel:[0,0,1] op_sel_hi:[0,1,0] neg_lo:[0,0,1] neg_hi:[0,0,1]
	v_accvgpr_read_b32 v10, a88
	v_mov_b32_e32 v205, v11
	s_waitcnt lgkmcnt(0)
	v_pk_mul_f32 v[10:11], v[10:11], v[14:15] op_sel_hi:[0,1]
	v_pk_fma_f32 v[200:201], v[126:127], v[14:15], v[10:11] op_sel:[0,0,1] op_sel_hi:[1,1,0]
	v_pk_fma_f32 v[10:11], v[126:127], v[14:15], v[10:11] op_sel:[0,0,1] op_sel_hi:[0,1,0] neg_lo:[0,0,1] neg_hi:[0,0,1]
	v_mov_b32_e32 v201, v11
	v_pk_add_f32 v[10:11], v[204:205], v[200:201]
	v_pk_add_f32 v[14:15], v[204:205], v[200:201] neg_lo:[0,1] neg_hi:[0,1]
	v_accvgpr_read_b32 v52, a70
	v_pk_fma_f32 v[10:11], v[10:11], 0.5, v[6:7] op_sel_hi:[1,0,1] neg_lo:[1,0,0] neg_hi:[1,0,0]
	v_pk_mul_f32 v[14:15], v[14:15], s[2:3] op_sel_hi:[1,0]
	v_accvgpr_read_b32 v53, a71
	v_pk_add_f32 v[202:203], v[10:11], v[14:15] op_sel:[0,1] op_sel_hi:[1,0]
	v_pk_add_f32 v[206:207], v[10:11], v[14:15] op_sel:[0,1] op_sel_hi:[1,0] neg_lo:[0,1] neg_hi:[0,1]
	v_pk_mul_f32 v[10:11], v[52:53], v[8:9] op_sel:[1,0]
	v_accvgpr_read_b32 v54, a72
	v_pk_fma_f32 v[208:209], v[52:53], v[8:9], v[10:11] op_sel:[0,0,1] op_sel_hi:[1,1,0]
	v_pk_fma_f32 v[8:9], v[52:53], v[8:9], v[10:11] op_sel:[0,0,1] op_sel_hi:[0,1,0] neg_lo:[0,0,1] neg_hi:[0,0,1]
	v_accvgpr_read_b32 v8, a90
	v_mov_b32_e32 v209, v9
	v_pk_mul_f32 v[8:9], v[8:9], v[12:13] op_sel_hi:[0,1]
	v_pk_fma_f32 v[210:211], v[54:55], v[12:13], v[8:9] op_sel:[0,0,1] op_sel_hi:[1,1,0]
	v_pk_fma_f32 v[8:9], v[54:55], v[12:13], v[8:9] op_sel:[0,0,1] op_sel_hi:[0,1,0] neg_lo:[0,0,1] neg_hi:[0,0,1]
	v_mov_b32_e32 v211, v9
	v_pk_add_f32 v[8:9], v[208:209], v[210:211]
	v_pk_add_f32 v[10:11], v[208:209], v[210:211] neg_lo:[0,1] neg_hi:[0,1]
	v_pk_fma_f32 v[8:9], v[8:9], 0.5, v[4:5] op_sel_hi:[1,0,1] neg_lo:[1,0,0] neg_hi:[1,0,0]
	v_pk_mul_f32 v[10:11], v[10:11], s[2:3] op_sel_hi:[1,0]
	v_accvgpr_read_b32 v126, a94
	v_pk_add_f32 v[212:213], v[8:9], v[10:11] op_sel:[0,1] op_sel_hi:[1,0]
	v_pk_add_f32 v[214:215], v[8:9], v[10:11] op_sel:[0,1] op_sel_hi:[1,0] neg_lo:[0,1] neg_hi:[0,1]
	ds_read2_b64 v[8:11], v135 offset0:68 offset1:149
	ds_read2_b64 v[12:15], v131 offset0:110 offset1:191
	;; [unrolled: 1-line block ×3, first 2 shown]
	v_accvgpr_read_b32 v125, a93
	v_accvgpr_read_b32 v124, a92
	v_pk_add_f32 v[4:5], v[4:5], v[208:209]
	s_waitcnt lgkmcnt(1)
	v_pk_mul_f32 v[52:53], v[124:125], v[14:15] op_sel:[1,0]
	v_pk_add_f32 v[4:5], v[4:5], v[210:211]
	v_pk_fma_f32 v[218:219], v[124:125], v[14:15], v[52:53] op_sel:[0,0,1] op_sel_hi:[1,1,0]
	v_pk_fma_f32 v[14:15], v[124:125], v[14:15], v[52:53] op_sel:[0,0,1] op_sel_hi:[0,1,0] neg_lo:[0,0,1] neg_hi:[0,0,1]
	v_accvgpr_read_b32 v14, a96
	v_mov_b32_e32 v219, v15
	s_waitcnt lgkmcnt(0)
	v_pk_mul_f32 v[14:15], v[14:15], v[228:229] op_sel_hi:[0,1]
	v_pk_fma_f32 v[52:53], v[126:127], v[228:229], v[14:15] op_sel:[0,0,1] op_sel_hi:[1,1,0]
	v_pk_fma_f32 v[14:15], v[126:127], v[228:229], v[14:15] op_sel:[0,0,1] op_sel_hi:[0,1,0] neg_lo:[0,0,1] neg_hi:[0,0,1]
	v_mov_b32_e32 v53, v15
	v_pk_add_f32 v[14:15], v[218:219], v[52:53]
	v_pk_add_f32 v[54:55], v[218:219], v[52:53] neg_lo:[0,1] neg_hi:[0,1]
	v_accvgpr_read_b32 v126, a100
	v_pk_fma_f32 v[14:15], v[14:15], 0.5, v[10:11] op_sel_hi:[1,0,1] neg_lo:[1,0,0] neg_hi:[1,0,0]
	v_pk_mul_f32 v[54:55], v[54:55], s[2:3] op_sel_hi:[1,0]
	v_accvgpr_read_b32 v125, a99
	v_accvgpr_read_b32 v124, a98
	v_pk_add_f32 v[216:217], v[14:15], v[54:55] op_sel:[0,1] op_sel_hi:[1,0]
	v_pk_add_f32 v[220:221], v[14:15], v[54:55] op_sel:[0,1] op_sel_hi:[1,0] neg_lo:[0,1] neg_hi:[0,1]
	v_pk_mul_f32 v[14:15], v[124:125], v[12:13] op_sel:[1,0]
	s_nop 0
	v_pk_fma_f32 v[222:223], v[124:125], v[12:13], v[14:15] op_sel:[0,0,1] op_sel_hi:[1,1,0]
	v_pk_fma_f32 v[12:13], v[124:125], v[12:13], v[14:15] op_sel:[0,0,1] op_sel_hi:[0,1,0] neg_lo:[0,0,1] neg_hi:[0,0,1]
	v_accvgpr_read_b32 v12, a102
	v_mov_b32_e32 v223, v13
	v_pk_mul_f32 v[12:13], v[12:13], v[226:227] op_sel_hi:[0,1]
	v_pk_fma_f32 v[224:225], v[126:127], v[226:227], v[12:13] op_sel:[0,0,1] op_sel_hi:[1,1,0]
	v_pk_fma_f32 v[12:13], v[126:127], v[226:227], v[12:13] op_sel:[0,0,1] op_sel_hi:[0,1,0] neg_lo:[0,0,1] neg_hi:[0,0,1]
	v_mov_b32_e32 v225, v13
	v_pk_add_f32 v[12:13], v[222:223], v[224:225]
	v_pk_add_f32 v[14:15], v[222:223], v[224:225] neg_lo:[0,1] neg_hi:[0,1]
	v_pk_fma_f32 v[12:13], v[12:13], 0.5, v[8:9] op_sel_hi:[1,0,1] neg_lo:[1,0,0] neg_hi:[1,0,0]
	v_pk_mul_f32 v[14:15], v[14:15], s[2:3] op_sel_hi:[1,0]
	v_accvgpr_read_b32 v126, a106
	v_pk_add_f32 v[226:227], v[12:13], v[14:15] op_sel:[0,1] op_sel_hi:[1,0]
	v_pk_add_f32 v[228:229], v[12:13], v[14:15] op_sel:[0,1] op_sel_hi:[1,0] neg_lo:[0,1] neg_hi:[0,1]
	ds_read2_b64 v[12:15], v160 offset0:162 offset1:243
	ds_read2_b64 v[230:233], v143 offset0:76 offset1:157
	;; [unrolled: 1-line block ×3, first 2 shown]
	v_accvgpr_read_b32 v125, a105
	v_accvgpr_read_b32 v124, a104
	v_pk_add_f32 v[8:9], v[8:9], v[222:223]
	s_waitcnt lgkmcnt(1)
	v_pk_mul_f32 v[54:55], v[124:125], v[232:233] op_sel:[1,0]
	v_pk_add_f32 v[8:9], v[8:9], v[224:225]
	v_pk_fma_f32 v[58:59], v[124:125], v[232:233], v[54:55] op_sel:[0,0,1] op_sel_hi:[1,1,0]
	v_pk_fma_f32 v[54:55], v[124:125], v[232:233], v[54:55] op_sel:[0,0,1] op_sel_hi:[0,1,0] neg_lo:[0,0,1] neg_hi:[0,0,1]
	v_accvgpr_read_b32 v54, a108
	v_mov_b32_e32 v59, v55
	s_waitcnt lgkmcnt(0)
	v_pk_mul_f32 v[54:55], v[54:55], v[236:237] op_sel_hi:[0,1]
	v_pk_fma_f32 v[124:125], v[126:127], v[236:237], v[54:55] op_sel:[0,0,1] op_sel_hi:[1,1,0]
	v_pk_fma_f32 v[54:55], v[126:127], v[236:237], v[54:55] op_sel:[0,0,1] op_sel_hi:[0,1,0] neg_lo:[0,0,1] neg_hi:[0,0,1]
	v_mov_b32_e32 v125, v55
	v_pk_add_f32 v[54:55], v[58:59], v[124:125]
	v_pk_add_f32 v[126:127], v[58:59], v[124:125] neg_lo:[0,1] neg_hi:[0,1]
	v_accvgpr_read_b32 v238, a112
	v_pk_fma_f32 v[54:55], v[54:55], 0.5, v[14:15] op_sel_hi:[1,0,1] neg_lo:[1,0,0] neg_hi:[1,0,0]
	v_pk_mul_f32 v[126:127], v[126:127], s[2:3] op_sel_hi:[1,0]
	v_accvgpr_read_b32 v237, a111
	v_accvgpr_read_b32 v236, a110
	v_pk_add_f32 v[162:163], v[54:55], v[126:127] op_sel:[0,1] op_sel_hi:[1,0]
	v_pk_add_f32 v[54:55], v[54:55], v[126:127] op_sel:[0,1] op_sel_hi:[1,0] neg_lo:[0,1] neg_hi:[0,1]
	v_pk_mul_f32 v[126:127], v[236:237], v[230:231] op_sel:[1,0]
	s_nop 0
	v_pk_fma_f32 v[242:243], v[236:237], v[230:231], v[126:127] op_sel:[0,0,1] op_sel_hi:[1,1,0]
	v_pk_fma_f32 v[126:127], v[236:237], v[230:231], v[126:127] op_sel:[0,0,1] op_sel_hi:[0,1,0] neg_lo:[0,0,1] neg_hi:[0,0,1]
	v_accvgpr_read_b32 v126, a114
	v_mov_b32_e32 v243, v127
	v_pk_mul_f32 v[126:127], v[126:127], v[234:235] op_sel_hi:[0,1]
	v_pk_fma_f32 v[244:245], v[238:239], v[234:235], v[126:127] op_sel:[0,0,1] op_sel_hi:[1,1,0]
	v_pk_fma_f32 v[126:127], v[238:239], v[234:235], v[126:127] op_sel:[0,0,1] op_sel_hi:[0,1,0] neg_lo:[0,0,1] neg_hi:[0,0,1]
	ds_read2_b64 v[230:233], v160 offset1:81
	ds_read2_b64 v[234:237], v91 offset0:42 offset1:123
	ds_read2_b64 v[238:241], v123 offset0:84 offset1:165
	s_waitcnt lgkmcnt(0)
	s_barrier
	v_pk_mul_f32 v[246:247], v[250:251], v[236:237] op_sel:[1,0]
	v_mov_b32_e32 v245, v127
	v_pk_fma_f32 v[248:249], v[250:251], v[236:237], v[246:247] op_sel:[0,0,1] op_sel_hi:[1,1,0]
	v_pk_fma_f32 v[236:237], v[250:251], v[236:237], v[246:247] op_sel:[0,0,1] op_sel_hi:[0,1,0] neg_lo:[0,0,1] neg_hi:[0,0,1]
	v_accvgpr_read_b32 v236, a120
	v_mov_b32_e32 v249, v237
	v_pk_mul_f32 v[236:237], v[236:237], v[240:241] op_sel_hi:[0,1]
	v_pk_fma_f32 v[246:247], v[252:253], v[240:241], v[236:237] op_sel:[0,0,1] op_sel_hi:[1,1,0]
	v_pk_fma_f32 v[236:237], v[252:253], v[240:241], v[236:237] op_sel:[0,0,1] op_sel_hi:[0,1,0] neg_lo:[0,0,1] neg_hi:[0,0,1]
	v_accvgpr_read_b32 v254, a124
	v_accvgpr_read_b32 v253, a123
	;; [unrolled: 1-line block ×3, first 2 shown]
	v_pk_mul_f32 v[240:241], v[252:253], v[234:235] op_sel:[1,0]
	v_mov_b32_e32 v247, v237
	v_pk_fma_f32 v[250:251], v[252:253], v[234:235], v[240:241] op_sel:[0,0,1] op_sel_hi:[1,1,0]
	v_pk_fma_f32 v[234:235], v[252:253], v[234:235], v[240:241] op_sel:[0,0,1] op_sel_hi:[0,1,0] neg_lo:[0,0,1] neg_hi:[0,0,1]
	v_accvgpr_read_b32 v234, a126
	v_mov_b32_e32 v251, v235
	v_pk_mul_f32 v[234:235], v[234:235], v[238:239] op_sel_hi:[0,1]
	v_pk_fma_f32 v[240:241], v[254:255], v[238:239], v[234:235] op_sel:[0,0,1] op_sel_hi:[1,1,0]
	v_pk_fma_f32 v[234:235], v[254:255], v[238:239], v[234:235] op_sel:[0,0,1] op_sel_hi:[0,1,0] neg_lo:[0,0,1] neg_hi:[0,0,1]
	v_mov_b32_e32 v241, v235
	v_pk_add_f32 v[238:239], v[250:251], v[240:241]
	v_pk_add_f32 v[234:235], v[230:231], v[250:251]
	v_pk_fma_f32 v[230:231], v[238:239], 0.5, v[230:231] op_sel_hi:[1,0,1] neg_lo:[1,0,0] neg_hi:[1,0,0]
	v_pk_add_f32 v[238:239], v[250:251], v[240:241] neg_lo:[0,1] neg_hi:[0,1]
	v_pk_add_f32 v[234:235], v[234:235], v[240:241]
	v_pk_mul_f32 v[238:239], v[238:239], s[2:3] op_sel_hi:[1,0]
	v_pk_add_f32 v[236:237], v[232:233], v[248:249]
	v_pk_add_f32 v[240:241], v[230:231], v[238:239] op_sel:[0,1] op_sel_hi:[1,0] neg_lo:[0,1] neg_hi:[0,1]
	v_pk_add_f32 v[230:231], v[230:231], v[238:239] op_sel:[0,1] op_sel_hi:[1,0]
	v_mov_b32_e32 v238, v240
	v_mov_b32_e32 v239, v231
	;; [unrolled: 1-line block ×3, first 2 shown]
	ds_write_b64 v31, v[230:231] offset:160
	v_pk_add_f32 v[230:231], v[248:249], v[246:247]
	ds_write2_b64 v31, v[234:235], v[238:239] offset1:10
	v_pk_fma_f32 v[230:231], v[230:231], 0.5, v[232:233] op_sel_hi:[1,0,1] neg_lo:[1,0,0] neg_hi:[1,0,0]
	v_pk_add_f32 v[232:233], v[248:249], v[246:247] neg_lo:[0,1] neg_hi:[0,1]
	v_accvgpr_read_b32 v31, a83
	v_pk_mul_f32 v[232:233], v[232:233], s[2:3] op_sel_hi:[1,0]
	v_pk_add_f32 v[126:127], v[12:13], v[242:243]
	v_pk_add_f32 v[234:235], v[230:231], v[232:233] op_sel:[0,1] op_sel_hi:[1,0] neg_lo:[0,1] neg_hi:[0,1]
	v_pk_add_f32 v[230:231], v[230:231], v[232:233] op_sel:[0,1] op_sel_hi:[1,0]
	v_pk_add_f32 v[236:237], v[236:237], v[246:247]
	v_mov_b32_e32 v233, v231
	v_mov_b32_e32 v231, v235
	ds_write_b64 v31, v[230:231] offset:160
	v_pk_add_f32 v[230:231], v[242:243], v[244:245]
	v_mov_b32_e32 v232, v234
	v_pk_fma_f32 v[12:13], v[230:231], 0.5, v[12:13] op_sel_hi:[1,0,1] neg_lo:[1,0,0] neg_hi:[1,0,0]
	v_pk_add_f32 v[230:231], v[242:243], v[244:245] neg_lo:[0,1] neg_hi:[0,1]
	ds_write2_b64 v31, v[236:237], v[232:233] offset1:10
	v_pk_mul_f32 v[230:231], v[230:231], s[2:3] op_sel_hi:[1,0]
	v_accvgpr_read_b32 v31, a67
	v_pk_add_f32 v[232:233], v[12:13], v[230:231] op_sel:[0,1] op_sel_hi:[1,0] neg_lo:[0,1] neg_hi:[0,1]
	v_pk_add_f32 v[12:13], v[12:13], v[230:231] op_sel:[0,1] op_sel_hi:[1,0]
	v_pk_add_f32 v[126:127], v[126:127], v[244:245]
	v_mov_b32_e32 v231, v13
	v_mov_b32_e32 v13, v233
	;; [unrolled: 1-line block ×3, first 2 shown]
	ds_write_b64 v31, v[12:13] offset:160
	v_pk_add_f32 v[12:13], v[14:15], v[58:59]
	ds_write2_b64 v31, v[126:127], v[230:231] offset1:10
	v_pk_add_f32 v[12:13], v[12:13], v[124:125]
	v_mov_b32_e32 v14, v54
	v_mov_b32_e32 v15, v163
	v_accvgpr_read_b32 v31, a66
	ds_write2_b64 v31, v[12:13], v[14:15] offset1:10
	v_mov_b32_e32 v163, v55
	v_mov_b32_e32 v12, v228
	;; [unrolled: 1-line block ×3, first 2 shown]
	v_accvgpr_read_b32 v14, a95
	ds_write_b64 v31, v[162:163] offset:160
	ds_write2_b64 v14, v[8:9], v[12:13] offset1:10
	v_pk_add_f32 v[8:9], v[10:11], v[218:219]
	v_mov_b32_e32 v227, v229
	v_pk_add_f32 v[8:9], v[8:9], v[52:53]
	v_mov_b32_e32 v10, v220
	v_mov_b32_e32 v11, v217
	v_accvgpr_read_b32 v12, a65
	ds_write_b64 v14, v[226:227] offset:160
	ds_write2_b64 v12, v[8:9], v[10:11] offset1:10
	v_mov_b32_e32 v217, v221
	v_mov_b32_e32 v8, v214
	;; [unrolled: 1-line block ×3, first 2 shown]
	v_accvgpr_read_b32 v10, a91
	ds_write_b64 v12, v[216:217] offset:160
	ds_write2_b64 v10, v[4:5], v[8:9] offset1:10
	v_pk_add_f32 v[4:5], v[6:7], v[204:205]
	v_mov_b32_e32 v213, v215
	v_pk_add_f32 v[4:5], v[4:5], v[200:201]
	v_mov_b32_e32 v6, v206
	v_mov_b32_e32 v7, v203
	v_accvgpr_read_b32 v8, a64
	ds_write_b64 v10, v[212:213] offset:160
	ds_write2_b64 v8, v[4:5], v[6:7] offset1:10
	v_mov_b32_e32 v203, v207
	v_mov_b32_e32 v4, v38
	v_mov_b32_e32 v5, v37
	v_accvgpr_read_b32 v6, a89
	ds_write_b64 v8, v[202:203] offset:160
	ds_write2_b64 v6, v[0:1], v[4:5] offset1:10
	v_pk_add_f32 v[0:1], v[2:3], v[20:21]
	v_mov_b32_e32 v37, v39
	v_pk_add_f32 v[0:1], v[0:1], v[16:17]
	v_mov_b32_e32 v2, v22
	v_mov_b32_e32 v3, v19
	v_accvgpr_read_b32 v4, a87
	v_mov_b32_e32 v19, v23
	ds_write_b64 v6, v[36:37] offset:160
	ds_write2_b64 v4, v[0:1], v[2:3] offset1:10
	ds_write_b64 v4, v[18:19] offset:160
	s_waitcnt lgkmcnt(0)
	s_barrier
	ds_read2_b64 v[0:3], v107 offset0:136 offset1:217
	ds_read2_b64 v[4:7], v139 offset0:50 offset1:131
	;; [unrolled: 1-line block ×3, first 2 shown]
	v_accvgpr_read_b32 v220, a146
	v_accvgpr_read_b32 v219, a145
	;; [unrolled: 1-line block ×3, first 2 shown]
	s_waitcnt lgkmcnt(1)
	v_pk_mul_f32 v[12:13], v[76:77], v[6:7] op_sel:[1,0]
	s_nop 0
	v_pk_fma_f32 v[20:21], v[76:77], v[6:7], v[12:13] op_sel:[0,0,1] op_sel_hi:[1,1,0]
	v_pk_fma_f32 v[6:7], v[76:77], v[6:7], v[12:13] op_sel:[0,0,1] op_sel_hi:[0,1,0] neg_lo:[0,0,1] neg_hi:[0,0,1]
	v_mov_b32_e32 v6, v79
	v_mov_b32_e32 v21, v7
	s_waitcnt lgkmcnt(0)
	v_pk_mul_f32 v[6:7], v[6:7], v[10:11] op_sel_hi:[0,1]
	v_pk_fma_f32 v[16:17], v[78:79], v[10:11], v[6:7] op_sel:[0,0,1] op_sel_hi:[1,1,0]
	v_pk_fma_f32 v[6:7], v[78:79], v[10:11], v[6:7] op_sel:[0,0,1] op_sel_hi:[0,1,0] neg_lo:[0,0,1] neg_hi:[0,0,1]
	v_mov_b32_e32 v17, v7
	v_pk_add_f32 v[6:7], v[20:21], v[16:17]
	v_pk_add_f32 v[10:11], v[20:21], v[16:17] neg_lo:[0,1] neg_hi:[0,1]
	v_pk_fma_f32 v[6:7], v[6:7], 0.5, v[2:3] op_sel_hi:[1,0,1] neg_lo:[1,0,0] neg_hi:[1,0,0]
	v_pk_mul_f32 v[10:11], v[10:11], s[2:3] op_sel_hi:[1,0]
	s_nop 0
	v_pk_add_f32 v[18:19], v[6:7], v[10:11] op_sel:[0,1] op_sel_hi:[1,0]
	v_pk_add_f32 v[22:23], v[6:7], v[10:11] op_sel:[0,1] op_sel_hi:[1,0] neg_lo:[0,1] neg_hi:[0,1]
	v_pk_mul_f32 v[6:7], v[72:73], v[4:5] op_sel:[1,0]
	s_nop 0
	v_pk_fma_f32 v[24:25], v[72:73], v[4:5], v[6:7] op_sel:[0,0,1] op_sel_hi:[1,1,0]
	v_pk_fma_f32 v[4:5], v[72:73], v[4:5], v[6:7] op_sel:[0,0,1] op_sel_hi:[0,1,0] neg_lo:[0,0,1] neg_hi:[0,0,1]
	v_accvgpr_read_b32 v4, a130
	v_mov_b32_e32 v25, v5
	v_pk_mul_f32 v[4:5], v[4:5], v[8:9] op_sel_hi:[0,1]
	v_pk_fma_f32 v[26:27], v[74:75], v[8:9], v[4:5] op_sel:[0,0,1] op_sel_hi:[1,1,0]
	v_pk_fma_f32 v[4:5], v[74:75], v[8:9], v[4:5] op_sel:[0,0,1] op_sel_hi:[0,1,0] neg_lo:[0,0,1] neg_hi:[0,0,1]
	v_mov_b32_e32 v27, v5
	v_pk_add_f32 v[4:5], v[24:25], v[26:27]
	v_pk_add_f32 v[6:7], v[24:25], v[26:27] neg_lo:[0,1] neg_hi:[0,1]
	v_pk_fma_f32 v[4:5], v[4:5], 0.5, v[0:1] op_sel_hi:[1,0,1] neg_lo:[1,0,0] neg_hi:[1,0,0]
	v_pk_mul_f32 v[6:7], v[6:7], s[2:3] op_sel_hi:[1,0]
	v_pk_add_f32 v[0:1], v[0:1], v[24:25]
	v_pk_add_f32 v[36:37], v[4:5], v[6:7] op_sel:[0,1] op_sel_hi:[1,0]
	v_pk_add_f32 v[38:39], v[4:5], v[6:7] op_sel:[0,1] op_sel_hi:[1,0] neg_lo:[0,1] neg_hi:[0,1]
	ds_read2_b64 v[4:7], v159 offset0:102 offset1:183
	ds_read2_b64 v[8:11], v161 offset0:16 offset1:97
	ds_read2_b64 v[12:15], v147 offset0:58 offset1:139
	v_pk_add_f32 v[0:1], v[0:1], v[26:27]
	s_waitcnt lgkmcnt(1)
	v_pk_mul_f32 v[52:53], v[68:69], v[10:11] op_sel:[1,0]
	s_nop 0
	v_pk_fma_f32 v[72:73], v[68:69], v[10:11], v[52:53] op_sel:[0,0,1] op_sel_hi:[1,1,0]
	v_pk_fma_f32 v[10:11], v[68:69], v[10:11], v[52:53] op_sel:[0,0,1] op_sel_hi:[0,1,0] neg_lo:[0,0,1] neg_hi:[0,0,1]
	v_accvgpr_read_b32 v10, a132
	v_mov_b32_e32 v73, v11
	s_waitcnt lgkmcnt(0)
	v_pk_mul_f32 v[10:11], v[10:11], v[14:15] op_sel_hi:[0,1]
	v_pk_fma_f32 v[68:69], v[70:71], v[14:15], v[10:11] op_sel:[0,0,1] op_sel_hi:[1,1,0]
	v_pk_fma_f32 v[10:11], v[70:71], v[14:15], v[10:11] op_sel:[0,0,1] op_sel_hi:[0,1,0] neg_lo:[0,0,1] neg_hi:[0,0,1]
	v_mov_b32_e32 v69, v11
	v_pk_add_f32 v[10:11], v[72:73], v[68:69]
	v_pk_add_f32 v[14:15], v[72:73], v[68:69] neg_lo:[0,1] neg_hi:[0,1]
	v_pk_fma_f32 v[10:11], v[10:11], 0.5, v[6:7] op_sel_hi:[1,0,1] neg_lo:[1,0,0] neg_hi:[1,0,0]
	v_pk_mul_f32 v[14:15], v[14:15], s[2:3] op_sel_hi:[1,0]
	s_nop 0
	v_pk_add_f32 v[70:71], v[10:11], v[14:15] op_sel:[0,1] op_sel_hi:[1,0]
	v_pk_add_f32 v[74:75], v[10:11], v[14:15] op_sel:[0,1] op_sel_hi:[1,0] neg_lo:[0,1] neg_hi:[0,1]
	v_pk_mul_f32 v[10:11], v[64:65], v[8:9] op_sel:[1,0]
	s_nop 0
	v_pk_fma_f32 v[76:77], v[64:65], v[8:9], v[10:11] op_sel:[0,0,1] op_sel_hi:[1,1,0]
	v_pk_fma_f32 v[8:9], v[64:65], v[8:9], v[10:11] op_sel:[0,0,1] op_sel_hi:[0,1,0] neg_lo:[0,0,1] neg_hi:[0,0,1]
	v_accvgpr_read_b32 v8, a134
	v_mov_b32_e32 v77, v9
	v_pk_mul_f32 v[8:9], v[8:9], v[12:13] op_sel_hi:[0,1]
	v_pk_fma_f32 v[64:65], v[66:67], v[12:13], v[8:9] op_sel:[0,0,1] op_sel_hi:[1,1,0]
	v_pk_fma_f32 v[8:9], v[66:67], v[12:13], v[8:9] op_sel:[0,0,1] op_sel_hi:[0,1,0] neg_lo:[0,0,1] neg_hi:[0,0,1]
	v_mov_b32_e32 v65, v9
	v_pk_add_f32 v[8:9], v[76:77], v[64:65]
	v_pk_add_f32 v[10:11], v[76:77], v[64:65] neg_lo:[0,1] neg_hi:[0,1]
	v_pk_fma_f32 v[8:9], v[8:9], 0.5, v[4:5] op_sel_hi:[1,0,1] neg_lo:[1,0,0] neg_hi:[1,0,0]
	v_pk_mul_f32 v[10:11], v[10:11], s[2:3] op_sel_hi:[1,0]
	v_pk_add_f32 v[4:5], v[4:5], v[76:77]
	v_pk_add_f32 v[66:67], v[8:9], v[10:11] op_sel:[0,1] op_sel_hi:[1,0]
	v_pk_add_f32 v[78:79], v[8:9], v[10:11] op_sel:[0,1] op_sel_hi:[1,0] neg_lo:[0,1] neg_hi:[0,1]
	ds_read2_b64 v[8:11], v135 offset0:68 offset1:149
	ds_read2_b64 v[12:15], v131 offset0:110 offset1:191
	ds_read2_b64 v[204:207], v175 offset0:152 offset1:233
	v_pk_add_f32 v[4:5], v[4:5], v[64:65]
	s_waitcnt lgkmcnt(1)
	v_pk_mul_f32 v[52:53], v[60:61], v[14:15] op_sel:[1,0]
	s_nop 0
	v_pk_fma_f32 v[200:201], v[60:61], v[14:15], v[52:53] op_sel:[0,0,1] op_sel_hi:[1,1,0]
	v_pk_fma_f32 v[14:15], v[60:61], v[14:15], v[52:53] op_sel:[0,0,1] op_sel_hi:[0,1,0] neg_lo:[0,0,1] neg_hi:[0,0,1]
	v_accvgpr_read_b32 v14, a136
	;; [unrolled: 40-line block ×3, first 2 shown]
	v_mov_b32_e32 v59, v33
	s_waitcnt lgkmcnt(0)
	v_pk_mul_f32 v[32:33], v[32:33], v[212:213] op_sel_hi:[0,1]
	v_pk_fma_f32 v[54:55], v[34:35], v[212:213], v[32:33] op_sel:[0,0,1] op_sel_hi:[1,1,0]
	v_pk_fma_f32 v[32:33], v[34:35], v[212:213], v[32:33] op_sel:[0,0,1] op_sel_hi:[0,1,0] neg_lo:[0,0,1] neg_hi:[0,0,1]
	v_mov_b32_e32 v55, v33
	v_pk_add_f32 v[32:33], v[58:59], v[54:55]
	v_pk_add_f32 v[34:35], v[58:59], v[54:55] neg_lo:[0,1] neg_hi:[0,1]
	v_pk_fma_f32 v[32:33], v[32:33], 0.5, v[14:15] op_sel_hi:[1,0,1] neg_lo:[1,0,0] neg_hi:[1,0,0]
	v_pk_mul_f32 v[34:35], v[34:35], s[2:3] op_sel_hi:[1,0]
	s_nop 0
	v_pk_add_f32 v[124:125], v[32:33], v[34:35] op_sel:[0,1] op_sel_hi:[1,0]
	v_pk_add_f32 v[126:127], v[32:33], v[34:35] op_sel:[0,1] op_sel_hi:[1,0] neg_lo:[0,1] neg_hi:[0,1]
	v_pk_mul_f32 v[32:33], v[48:49], v[206:207] op_sel:[1,0]
	s_nop 0
	v_pk_fma_f32 v[162:163], v[48:49], v[206:207], v[32:33] op_sel:[0,0,1] op_sel_hi:[1,1,0]
	v_pk_fma_f32 v[32:33], v[48:49], v[206:207], v[32:33] op_sel:[0,0,1] op_sel_hi:[0,1,0] neg_lo:[0,0,1] neg_hi:[0,0,1]
	v_accvgpr_read_b32 v32, a142
	v_mov_b32_e32 v163, v33
	v_pk_mul_f32 v[32:33], v[32:33], v[210:211] op_sel_hi:[0,1]
	v_pk_fma_f32 v[212:213], v[50:51], v[210:211], v[32:33] op_sel:[0,0,1] op_sel_hi:[1,1,0]
	v_pk_fma_f32 v[32:33], v[50:51], v[210:211], v[32:33] op_sel:[0,0,1] op_sel_hi:[0,1,0] neg_lo:[0,0,1] neg_hi:[0,0,1]
	v_mov_b32_e32 v213, v33
	v_pk_add_f32 v[32:33], v[12:13], v[162:163]
	s_nop 0
	v_pk_add_f32 v[210:211], v[32:33], v[212:213]
	ds_read2_b64 v[32:35], v160 offset1:81
	ds_read2_b64 v[48:51], v91 offset0:42 offset1:123
	ds_read2_b64 v[206:209], v123 offset0:84 offset1:165
	s_waitcnt lgkmcnt(0)
	s_barrier
	v_pk_mul_f32 v[214:215], v[218:219], v[50:51] op_sel:[1,0]
	s_nop 0
	v_pk_fma_f32 v[216:217], v[218:219], v[50:51], v[214:215] op_sel:[0,0,1] op_sel_hi:[1,1,0]
	v_pk_fma_f32 v[50:51], v[218:219], v[50:51], v[214:215] op_sel:[0,0,1] op_sel_hi:[0,1,0] neg_lo:[0,0,1] neg_hi:[0,0,1]
	v_accvgpr_read_b32 v50, a148
	v_mov_b32_e32 v217, v51
	v_pk_mul_f32 v[50:51], v[50:51], v[208:209] op_sel_hi:[0,1]
	v_pk_fma_f32 v[214:215], v[220:221], v[208:209], v[50:51] op_sel:[0,0,1] op_sel_hi:[1,1,0]
	v_pk_fma_f32 v[50:51], v[220:221], v[208:209], v[50:51] op_sel:[0,0,1] op_sel_hi:[0,1,0] neg_lo:[0,0,1] neg_hi:[0,0,1]
	v_pk_mul_f32 v[208:209], v[40:41], v[48:49] op_sel:[1,0]
	v_mov_b32_e32 v215, v51
	v_pk_fma_f32 v[218:219], v[40:41], v[48:49], v[208:209] op_sel:[0,0,1] op_sel_hi:[1,1,0]
	v_pk_fma_f32 v[40:41], v[40:41], v[48:49], v[208:209] op_sel:[0,0,1] op_sel_hi:[0,1,0] neg_lo:[0,0,1] neg_hi:[0,0,1]
	v_accvgpr_read_b32 v40, a150
	v_mov_b32_e32 v219, v41
	v_pk_mul_f32 v[40:41], v[40:41], v[206:207] op_sel_hi:[0,1]
	v_pk_fma_f32 v[48:49], v[42:43], v[206:207], v[40:41] op_sel:[0,0,1] op_sel_hi:[1,1,0]
	v_pk_fma_f32 v[40:41], v[42:43], v[206:207], v[40:41] op_sel:[0,0,1] op_sel_hi:[0,1,0] neg_lo:[0,0,1] neg_hi:[0,0,1]
	v_mov_b32_e32 v49, v41
	v_pk_add_f32 v[42:43], v[218:219], v[48:49]
	v_pk_add_f32 v[40:41], v[32:33], v[218:219]
	v_pk_fma_f32 v[32:33], v[42:43], 0.5, v[32:33] op_sel_hi:[1,0,1] neg_lo:[1,0,0] neg_hi:[1,0,0]
	v_pk_add_f32 v[42:43], v[218:219], v[48:49] neg_lo:[0,1] neg_hi:[0,1]
	v_pk_add_f32 v[40:41], v[40:41], v[48:49]
	v_pk_mul_f32 v[42:43], v[42:43], s[2:3] op_sel_hi:[1,0]
	v_pk_add_f32 v[50:51], v[34:35], v[216:217]
	v_pk_add_f32 v[48:49], v[32:33], v[42:43] op_sel:[0,1] op_sel_hi:[1,0] neg_lo:[0,1] neg_hi:[0,1]
	v_pk_add_f32 v[32:33], v[32:33], v[42:43] op_sel:[0,1] op_sel_hi:[1,0]
	v_mov_b32_e32 v42, v48
	v_mov_b32_e32 v43, v33
	v_accvgpr_read_b32 v48, a107
	v_mov_b32_e32 v33, v49
	ds_write_b64 v48, v[32:33] offset:480
	v_pk_add_f32 v[32:33], v[216:217], v[214:215]
	ds_write2_b64 v48, v[40:41], v[42:43] offset1:30
	v_pk_fma_f32 v[32:33], v[32:33], 0.5, v[34:35] op_sel_hi:[1,0,1] neg_lo:[1,0,0] neg_hi:[1,0,0]
	v_pk_add_f32 v[34:35], v[216:217], v[214:215] neg_lo:[0,1] neg_hi:[0,1]
	v_pk_add_f32 v[50:51], v[50:51], v[214:215]
	v_pk_mul_f32 v[34:35], v[34:35], s[2:3] op_sel_hi:[1,0]
	s_nop 0
	v_pk_add_f32 v[40:41], v[32:33], v[34:35] op_sel:[0,1] op_sel_hi:[1,0] neg_lo:[0,1] neg_hi:[0,1]
	v_pk_add_f32 v[32:33], v[32:33], v[34:35] op_sel:[0,1] op_sel_hi:[1,0]
	v_mov_b32_e32 v34, v40
	v_mov_b32_e32 v35, v33
	v_accvgpr_read_b32 v40, a113
	v_mov_b32_e32 v33, v41
	ds_write_b64 v40, v[32:33] offset:480
	v_pk_add_f32 v[32:33], v[162:163], v[212:213]
	ds_write2_b64 v40, v[50:51], v[34:35] offset1:30
	v_pk_fma_f32 v[12:13], v[32:33], 0.5, v[12:13] op_sel_hi:[1,0,1] neg_lo:[1,0,0] neg_hi:[1,0,0]
	v_pk_add_f32 v[32:33], v[162:163], v[212:213] neg_lo:[0,1] neg_hi:[0,1]
	s_nop 0
	v_pk_mul_f32 v[32:33], v[32:33], s[2:3] op_sel_hi:[1,0]
	s_nop 0
	v_pk_add_f32 v[34:35], v[12:13], v[32:33] op_sel:[0,1] op_sel_hi:[1,0] neg_lo:[0,1] neg_hi:[0,1]
	v_pk_add_f32 v[12:13], v[12:13], v[32:33] op_sel:[0,1] op_sel_hi:[1,0]
	v_mov_b32_e32 v32, v34
	v_mov_b32_e32 v33, v13
	v_accvgpr_read_b32 v34, a109
	v_mov_b32_e32 v13, v35
	ds_write_b64 v34, v[12:13] offset:480
	v_pk_add_f32 v[12:13], v[14:15], v[58:59]
	ds_write2_b64 v34, v[210:211], v[32:33] offset1:30
	v_pk_add_f32 v[12:13], v[12:13], v[54:55]
	v_mov_b32_e32 v14, v126
	v_mov_b32_e32 v15, v125
	v_accvgpr_read_b32 v32, a77
	ds_write2_b64 v32, v[12:13], v[14:15] offset1:30
	v_mov_b32_e32 v125, v127
	v_mov_b32_e32 v12, v204
	;; [unrolled: 1-line block ×3, first 2 shown]
	v_accvgpr_read_b32 v14, a115
	ds_write_b64 v32, v[124:125] offset:480
	ds_write2_b64 v14, v[8:9], v[12:13] offset1:30
	v_pk_add_f32 v[8:9], v[10:11], v[200:201]
	v_mov_b32_e32 v31, v205
	v_pk_add_f32 v[8:9], v[8:9], v[52:53]
	v_mov_b32_e32 v10, v62
	v_mov_b32_e32 v11, v61
	v_accvgpr_read_b32 v12, a75
	ds_write_b64 v14, v[30:31] offset:480
	ds_write2_b64 v12, v[8:9], v[10:11] offset1:30
	v_mov_b32_e32 v61, v63
	v_mov_b32_e32 v8, v78
	;; [unrolled: 1-line block ×3, first 2 shown]
	v_accvgpr_read_b32 v10, a119
	ds_write_b64 v12, v[60:61] offset:480
	ds_write2_b64 v10, v[4:5], v[8:9] offset1:30
	v_pk_add_f32 v[4:5], v[6:7], v[72:73]
	v_mov_b32_e32 v67, v79
	v_pk_add_f32 v[4:5], v[4:5], v[68:69]
	v_mov_b32_e32 v6, v74
	v_mov_b32_e32 v7, v71
	v_accvgpr_read_b32 v8, a74
	ds_write_b64 v10, v[66:67] offset:480
	ds_write2_b64 v8, v[4:5], v[6:7] offset1:30
	v_mov_b32_e32 v71, v75
	v_mov_b32_e32 v4, v38
	;; [unrolled: 1-line block ×3, first 2 shown]
	v_accvgpr_read_b32 v6, a121
	ds_write_b64 v8, v[70:71] offset:480
	ds_write2_b64 v6, v[0:1], v[4:5] offset1:30
	v_pk_add_f32 v[0:1], v[2:3], v[20:21]
	v_mov_b32_e32 v37, v39
	v_pk_add_f32 v[0:1], v[0:1], v[16:17]
	v_mov_b32_e32 v2, v22
	v_mov_b32_e32 v3, v19
	v_accvgpr_read_b32 v4, a125
	v_mov_b32_e32 v19, v23
	ds_write_b64 v6, v[36:37] offset:480
	ds_write2_b64 v4, v[0:1], v[2:3] offset1:30
	ds_write_b64 v4, v[18:19] offset:480
	s_waitcnt lgkmcnt(0)
	s_barrier
	ds_read2_b64 v[8:11], v160 offset1:81
	ds_read2_b64 v[18:21], v91 offset0:42 offset1:123
	ds_read2_b64 v[14:17], v123 offset0:84 offset1:165
	v_mov_b32_e32 v124, v91
	s_waitcnt lgkmcnt(1)
	v_pk_mul_f32 v[0:1], v[108:109], v[18:19] op_sel:[1,0]
	s_nop 0
	v_pk_fma_f32 v[66:67], v[108:109], v[18:19], v[0:1] op_sel:[0,0,1] op_sel_hi:[1,1,0]
	v_pk_fma_f32 v[0:1], v[108:109], v[18:19], v[0:1] op_sel:[0,0,1] op_sel_hi:[0,1,0] neg_lo:[0,0,1] neg_hi:[0,0,1]
	v_accvgpr_read_b32 v0, a152
	v_mov_b32_e32 v67, v1
	s_waitcnt lgkmcnt(0)
	v_pk_mul_f32 v[0:1], v[0:1], v[14:15] op_sel_hi:[0,1]
	v_pk_fma_f32 v[68:69], v[110:111], v[14:15], v[0:1] op_sel:[0,0,1] op_sel_hi:[1,1,0]
	v_pk_fma_f32 v[0:1], v[110:111], v[14:15], v[0:1] op_sel:[0,0,1] op_sel_hi:[0,1,0] neg_lo:[0,0,1] neg_hi:[0,0,1]
	v_mov_b32_e32 v69, v1
	v_pk_add_f32 v[0:1], v[8:9], v[66:67]
	v_accvgpr_read_b32 v108, a170
	v_pk_add_f32 v[64:65], v[0:1], v[68:69]
	ds_read2_b64 v[0:3], v107 offset0:136 offset1:217
	ds_read2_b64 v[4:7], v139 offset0:50 offset1:131
	ds_read2_b64 v[12:15], v171 offset0:92 offset1:173
	v_accvgpr_read_b32 v109, a171
	v_accvgpr_read_b32 v110, a172
	s_waitcnt lgkmcnt(1)
	v_pk_mul_f32 v[22:23], v[116:117], v[6:7] op_sel:[1,0]
	s_nop 0
	v_pk_fma_f32 v[18:19], v[116:117], v[6:7], v[22:23] op_sel:[0,0,1] op_sel_hi:[1,1,0]
	v_pk_fma_f32 v[6:7], v[116:117], v[6:7], v[22:23] op_sel:[0,0,1] op_sel_hi:[0,1,0] neg_lo:[0,0,1] neg_hi:[0,0,1]
	v_accvgpr_read_b32 v6, a154
	v_mov_b32_e32 v19, v7
	s_waitcnt lgkmcnt(0)
	v_pk_mul_f32 v[6:7], v[6:7], v[14:15] op_sel_hi:[0,1]
	v_pk_fma_f32 v[26:27], v[118:119], v[14:15], v[6:7] op_sel:[0,0,1] op_sel_hi:[1,1,0]
	v_pk_fma_f32 v[6:7], v[118:119], v[14:15], v[6:7] op_sel:[0,0,1] op_sel_hi:[0,1,0] neg_lo:[0,0,1] neg_hi:[0,0,1]
	v_mov_b32_e32 v27, v7
	v_pk_add_f32 v[6:7], v[18:19], v[26:27]
	v_pk_add_f32 v[14:15], v[18:19], v[26:27] neg_lo:[0,1] neg_hi:[0,1]
	v_pk_fma_f32 v[6:7], v[6:7], 0.5, v[2:3] op_sel_hi:[1,0,1] neg_lo:[1,0,0] neg_hi:[1,0,0]
	v_pk_mul_f32 v[14:15], v[14:15], s[2:3] op_sel_hi:[1,0]
	s_nop 0
	v_pk_add_f32 v[28:29], v[6:7], v[14:15] op_sel:[0,1] op_sel_hi:[1,0]
	v_pk_add_f32 v[30:31], v[6:7], v[14:15] op_sel:[0,1] op_sel_hi:[1,0] neg_lo:[0,1] neg_hi:[0,1]
	v_pk_mul_f32 v[6:7], v[112:113], v[4:5] op_sel:[1,0]
	s_nop 0
	v_pk_fma_f32 v[32:33], v[112:113], v[4:5], v[6:7] op_sel:[0,0,1] op_sel_hi:[1,1,0]
	v_pk_fma_f32 v[4:5], v[112:113], v[4:5], v[6:7] op_sel:[0,0,1] op_sel_hi:[0,1,0] neg_lo:[0,0,1] neg_hi:[0,0,1]
	v_accvgpr_read_b32 v4, a156
	v_mov_b32_e32 v33, v5
	v_pk_mul_f32 v[4:5], v[4:5], v[12:13] op_sel_hi:[0,1]
	v_pk_fma_f32 v[34:35], v[114:115], v[12:13], v[4:5] op_sel:[0,0,1] op_sel_hi:[1,1,0]
	v_pk_fma_f32 v[4:5], v[114:115], v[12:13], v[4:5] op_sel:[0,0,1] op_sel_hi:[0,1,0] neg_lo:[0,0,1] neg_hi:[0,0,1]
	v_mov_b32_e32 v35, v5
	v_pk_add_f32 v[4:5], v[32:33], v[34:35]
	v_pk_add_f32 v[6:7], v[32:33], v[34:35] neg_lo:[0,1] neg_hi:[0,1]
	v_pk_fma_f32 v[4:5], v[4:5], 0.5, v[0:1] op_sel_hi:[1,0,1] neg_lo:[1,0,0] neg_hi:[1,0,0]
	v_pk_mul_f32 v[6:7], v[6:7], s[2:3] op_sel_hi:[1,0]
	v_pk_add_f32 v[0:1], v[0:1], v[32:33]
	v_pk_add_f32 v[36:37], v[4:5], v[6:7] op_sel:[0,1] op_sel_hi:[1,0]
	v_pk_add_f32 v[38:39], v[4:5], v[6:7] op_sel:[0,1] op_sel_hi:[1,0] neg_lo:[0,1] neg_hi:[0,1]
	ds_read2_b64 v[4:7], v159 offset0:102 offset1:183
	ds_read2_b64 v[12:15], v161 offset0:16 offset1:97
	;; [unrolled: 1-line block ×3, first 2 shown]
	v_pk_add_f32 v[0:1], v[0:1], v[34:35]
	s_waitcnt lgkmcnt(1)
	v_pk_mul_f32 v[40:41], v[44:45], v[14:15] op_sel:[1,0]
	s_nop 0
	v_pk_fma_f32 v[42:43], v[44:45], v[14:15], v[40:41] op_sel:[0,0,1] op_sel_hi:[1,1,0]
	v_pk_fma_f32 v[14:15], v[44:45], v[14:15], v[40:41] op_sel:[0,0,1] op_sel_hi:[0,1,0] neg_lo:[0,0,1] neg_hi:[0,0,1]
	v_accvgpr_read_b32 v14, a158
	v_mov_b32_e32 v43, v15
	s_waitcnt lgkmcnt(0)
	v_pk_mul_f32 v[14:15], v[14:15], v[24:25] op_sel_hi:[0,1]
	v_pk_fma_f32 v[40:41], v[46:47], v[24:25], v[14:15] op_sel:[0,0,1] op_sel_hi:[1,1,0]
	v_pk_fma_f32 v[14:15], v[46:47], v[24:25], v[14:15] op_sel:[0,0,1] op_sel_hi:[0,1,0] neg_lo:[0,0,1] neg_hi:[0,0,1]
	v_mov_b32_e32 v41, v15
	v_pk_add_f32 v[14:15], v[42:43], v[40:41]
	v_pk_add_f32 v[24:25], v[42:43], v[40:41] neg_lo:[0,1] neg_hi:[0,1]
	v_pk_fma_f32 v[14:15], v[14:15], 0.5, v[6:7] op_sel_hi:[1,0,1] neg_lo:[1,0,0] neg_hi:[1,0,0]
	v_pk_mul_f32 v[24:25], v[24:25], s[2:3] op_sel_hi:[1,0]
	s_nop 0
	v_pk_add_f32 v[44:45], v[14:15], v[24:25] op_sel:[0,1] op_sel_hi:[1,0]
	v_pk_add_f32 v[46:47], v[14:15], v[24:25] op_sel:[0,1] op_sel_hi:[1,0] neg_lo:[0,1] neg_hi:[0,1]
	v_pk_mul_f32 v[14:15], v[80:81], v[12:13] op_sel:[1,0]
	s_nop 0
	v_pk_fma_f32 v[48:49], v[80:81], v[12:13], v[14:15] op_sel:[0,0,1] op_sel_hi:[1,1,0]
	v_pk_fma_f32 v[12:13], v[80:81], v[12:13], v[14:15] op_sel:[0,0,1] op_sel_hi:[0,1,0] neg_lo:[0,0,1] neg_hi:[0,0,1]
	v_accvgpr_read_b32 v12, a160
	v_mov_b32_e32 v49, v13
	v_pk_mul_f32 v[12:13], v[12:13], v[22:23] op_sel_hi:[0,1]
	v_pk_fma_f32 v[62:63], v[82:83], v[22:23], v[12:13] op_sel:[0,0,1] op_sel_hi:[1,1,0]
	v_pk_fma_f32 v[12:13], v[82:83], v[22:23], v[12:13] op_sel:[0,0,1] op_sel_hi:[0,1,0] neg_lo:[0,0,1] neg_hi:[0,0,1]
	v_mov_b32_e32 v63, v13
	v_pk_add_f32 v[12:13], v[48:49], v[62:63]
	v_pk_add_f32 v[14:15], v[48:49], v[62:63] neg_lo:[0,1] neg_hi:[0,1]
	v_pk_fma_f32 v[12:13], v[12:13], 0.5, v[4:5] op_sel_hi:[1,0,1] neg_lo:[1,0,0] neg_hi:[1,0,0]
	v_pk_mul_f32 v[14:15], v[14:15], s[2:3] op_sel_hi:[1,0]
	v_mov_b32_e32 v82, v87
	v_pk_add_f32 v[50:51], v[12:13], v[14:15] op_sel:[0,1] op_sel_hi:[1,0]
	v_pk_add_f32 v[60:61], v[12:13], v[14:15] op_sel:[0,1] op_sel_hi:[1,0] neg_lo:[0,1] neg_hi:[0,1]
	ds_read2_b64 v[12:15], v135 offset0:68 offset1:149
	ds_read2_b64 v[22:25], v131 offset0:110 offset1:191
	;; [unrolled: 1-line block ×3, first 2 shown]
	v_pk_add_f32 v[4:5], v[4:5], v[48:49]
	s_waitcnt lgkmcnt(1)
	v_pk_mul_f32 v[52:53], v[96:97], v[24:25] op_sel:[1,0]
	s_nop 0
	v_pk_fma_f32 v[74:75], v[96:97], v[24:25], v[52:53] op_sel:[0,0,1] op_sel_hi:[1,1,0]
	v_pk_fma_f32 v[24:25], v[96:97], v[24:25], v[52:53] op_sel:[0,0,1] op_sel_hi:[0,1,0] neg_lo:[0,0,1] neg_hi:[0,0,1]
	v_mov_b32_e32 v24, v99
	v_mov_b32_e32 v75, v25
	s_waitcnt lgkmcnt(0)
	v_pk_mul_f32 v[24:25], v[24:25], v[202:203] op_sel_hi:[0,1]
	v_pk_fma_f32 v[72:73], v[98:99], v[202:203], v[24:25] op_sel:[0,0,1] op_sel_hi:[1,1,0]
	v_pk_fma_f32 v[24:25], v[98:99], v[202:203], v[24:25] op_sel:[0,0,1] op_sel_hi:[0,1,0] neg_lo:[0,0,1] neg_hi:[0,0,1]
	v_mov_b32_e32 v73, v25
	v_pk_add_f32 v[24:25], v[74:75], v[72:73]
	v_pk_add_f32 v[52:53], v[74:75], v[72:73] neg_lo:[0,1] neg_hi:[0,1]
	v_pk_fma_f32 v[24:25], v[24:25], 0.5, v[14:15] op_sel_hi:[1,0,1] neg_lo:[1,0,0] neg_hi:[1,0,0]
	v_pk_mul_f32 v[54:55], v[52:53], s[2:3] op_sel_hi:[1,0]
	v_pk_add_f32 v[4:5], v[4:5], v[62:63]
	v_pk_add_f32 v[52:53], v[24:25], v[54:55] op_sel:[0,1] op_sel_hi:[1,0]
	v_pk_add_f32 v[70:71], v[24:25], v[54:55] op_sel:[0,1] op_sel_hi:[1,0] neg_lo:[0,1] neg_hi:[0,1]
	v_pk_mul_f32 v[24:25], v[92:93], v[22:23] op_sel:[1,0]
	s_nop 0
	v_pk_fma_f32 v[76:77], v[92:93], v[22:23], v[24:25] op_sel:[0,0,1] op_sel_hi:[1,1,0]
	v_pk_fma_f32 v[22:23], v[92:93], v[22:23], v[24:25] op_sel:[0,0,1] op_sel_hi:[0,1,0] neg_lo:[0,0,1] neg_hi:[0,0,1]
	v_mov_b32_e32 v22, v95
	v_mov_b32_e32 v77, v23
	v_pk_mul_f32 v[22:23], v[22:23], v[200:201] op_sel_hi:[0,1]
	v_pk_fma_f32 v[78:79], v[94:95], v[200:201], v[22:23] op_sel:[0,0,1] op_sel_hi:[1,1,0]
	v_pk_fma_f32 v[22:23], v[94:95], v[200:201], v[22:23] op_sel:[0,0,1] op_sel_hi:[0,1,0] neg_lo:[0,0,1] neg_hi:[0,0,1]
	v_mov_b32_e32 v79, v23
	v_pk_add_f32 v[22:23], v[76:77], v[78:79]
	v_pk_add_f32 v[24:25], v[76:77], v[78:79] neg_lo:[0,1] neg_hi:[0,1]
	v_pk_fma_f32 v[22:23], v[22:23], 0.5, v[12:13] op_sel_hi:[1,0,1] neg_lo:[1,0,0] neg_hi:[1,0,0]
	v_pk_mul_f32 v[24:25], v[24:25], s[2:3] op_sel_hi:[1,0]
	s_nop 0
	v_pk_add_f32 v[92:93], v[22:23], v[24:25] op_sel:[0,1] op_sel_hi:[1,0]
	v_pk_add_f32 v[94:95], v[22:23], v[24:25] op_sel:[0,1] op_sel_hi:[1,0] neg_lo:[0,1] neg_hi:[0,1]
	ds_read2_b64 v[22:25], v160 offset0:162 offset1:243
	ds_read2_b64 v[200:203], v143 offset0:76 offset1:157
	;; [unrolled: 1-line block ×3, first 2 shown]
	s_waitcnt lgkmcnt(0)
	s_barrier
	v_pk_mul_f32 v[54:55], v[88:89], v[202:203] op_sel:[1,0]
	s_nop 0
	v_pk_fma_f32 v[96:97], v[88:89], v[202:203], v[54:55] op_sel:[0,0,1] op_sel_hi:[1,1,0]
	v_pk_fma_f32 v[54:55], v[88:89], v[202:203], v[54:55] op_sel:[0,0,1] op_sel_hi:[0,1,0] neg_lo:[0,0,1] neg_hi:[0,0,1]
	v_accvgpr_read_b32 v54, a166
	v_mov_b32_e32 v97, v55
	v_pk_mul_f32 v[54:55], v[54:55], v[206:207] op_sel_hi:[0,1]
	v_pk_fma_f32 v[88:89], v[90:91], v[206:207], v[54:55] op_sel:[0,0,1] op_sel_hi:[1,1,0]
	v_pk_fma_f32 v[54:55], v[90:91], v[206:207], v[54:55] op_sel:[0,0,1] op_sel_hi:[0,1,0] neg_lo:[0,0,1] neg_hi:[0,0,1]
	v_mov_b32_e32 v89, v55
	v_pk_add_f32 v[54:55], v[96:97], v[88:89]
	v_pk_add_f32 v[58:59], v[96:97], v[88:89] neg_lo:[0,1] neg_hi:[0,1]
	v_pk_fma_f32 v[54:55], v[54:55], 0.5, v[24:25] op_sel_hi:[1,0,1] neg_lo:[1,0,0] neg_hi:[1,0,0]
	v_pk_mul_f32 v[58:59], v[58:59], s[2:3] op_sel_hi:[1,0]
	s_nop 0
	v_pk_add_f32 v[90:91], v[54:55], v[58:59] op_sel:[0,1] op_sel_hi:[1,0]
	v_pk_add_f32 v[98:99], v[54:55], v[58:59] op_sel:[0,1] op_sel_hi:[1,0] neg_lo:[0,1] neg_hi:[0,1]
	v_pk_mul_f32 v[54:55], v[84:85], v[200:201] op_sel:[1,0]
	s_nop 0
	v_pk_fma_f32 v[58:59], v[84:85], v[200:201], v[54:55] op_sel:[0,0,1] op_sel_hi:[1,1,0]
	v_pk_fma_f32 v[54:55], v[84:85], v[200:201], v[54:55] op_sel:[0,0,1] op_sel_hi:[0,1,0] neg_lo:[0,0,1] neg_hi:[0,0,1]
	v_accvgpr_read_b32 v54, a168
	v_mov_b32_e32 v59, v55
	v_pk_mul_f32 v[54:55], v[54:55], v[204:205] op_sel_hi:[0,1]
	v_pk_mul_f32 v[84:85], v[108:109], v[20:21] op_sel:[1,0]
	v_pk_fma_f32 v[80:81], v[86:87], v[204:205], v[54:55] op_sel:[0,0,1] op_sel_hi:[1,1,0]
	v_pk_fma_f32 v[54:55], v[86:87], v[204:205], v[54:55] op_sel:[0,0,1] op_sel_hi:[0,1,0] neg_lo:[0,0,1] neg_hi:[0,0,1]
	v_pk_fma_f32 v[86:87], v[108:109], v[20:21], v[84:85] op_sel:[0,0,1] op_sel_hi:[1,1,0]
	v_pk_fma_f32 v[20:21], v[108:109], v[20:21], v[84:85] op_sel:[0,0,1] op_sel_hi:[0,1,0] neg_lo:[0,0,1] neg_hi:[0,0,1]
	v_accvgpr_read_b32 v20, a174
	v_mov_b32_e32 v87, v21
	v_pk_mul_f32 v[20:21], v[20:21], v[16:17] op_sel_hi:[0,1]
	v_pk_fma_f32 v[84:85], v[110:111], v[16:17], v[20:21] op_sel:[0,0,1] op_sel_hi:[1,1,0]
	v_pk_fma_f32 v[16:17], v[110:111], v[16:17], v[20:21] op_sel:[0,0,1] op_sel_hi:[0,1,0] neg_lo:[0,0,1] neg_hi:[0,0,1]
	v_pk_add_f32 v[20:21], v[66:67], v[68:69]
	v_mov_b32_e32 v85, v17
	v_pk_fma_f32 v[8:9], v[20:21], 0.5, v[8:9] op_sel_hi:[1,0,1] neg_lo:[1,0,0] neg_hi:[1,0,0]
	v_pk_add_f32 v[20:21], v[66:67], v[68:69] neg_lo:[0,1] neg_hi:[0,1]
	v_pk_add_f32 v[16:17], v[10:11], v[86:87]
	v_pk_mul_f32 v[20:21], v[20:21], s[2:3] op_sel_hi:[1,0]
	v_mov_b32_e32 v81, v55
	v_pk_add_f32 v[66:67], v[8:9], v[20:21] op_sel:[0,1] op_sel_hi:[1,0]
	v_pk_add_f32 v[8:9], v[8:9], v[20:21] op_sel:[0,1] op_sel_hi:[1,0] neg_lo:[0,1] neg_hi:[0,1]
	v_mov_b32_e32 v21, v67
	v_mov_b32_e32 v20, v8
	;; [unrolled: 1-line block ×3, first 2 shown]
	v_pk_add_f32 v[8:9], v[86:87], v[84:85]
	ds_write2_b64 v160, v[64:65], v[20:21] offset1:90
	v_pk_fma_f32 v[8:9], v[8:9], 0.5, v[10:11] op_sel_hi:[1,0,1] neg_lo:[1,0,0] neg_hi:[1,0,0]
	v_pk_add_f32 v[10:11], v[86:87], v[84:85] neg_lo:[0,1] neg_hi:[0,1]
	v_pk_add_f32 v[16:17], v[16:17], v[84:85]
	v_pk_mul_f32 v[10:11], v[10:11], s[2:3] op_sel_hi:[1,0]
	ds_write_b64 v160, v[66:67] offset:1440
	v_pk_add_f32 v[20:21], v[8:9], v[10:11] op_sel:[0,1] op_sel_hi:[1,0] neg_lo:[0,1] neg_hi:[0,1]
	v_pk_add_f32 v[8:9], v[8:9], v[10:11] op_sel:[0,1] op_sel_hi:[1,0]
	v_mov_b32_e32 v10, v20
	v_mov_b32_e32 v11, v9
	;; [unrolled: 1-line block ×3, first 2 shown]
	ds_write2_b64 v111, v[16:17], v[10:11] offset1:90
	ds_write_b64 v111, v[8:9] offset:1440
	v_pk_add_f32 v[8:9], v[58:59], v[80:81]
	v_pk_add_f32 v[10:11], v[58:59], v[80:81] neg_lo:[0,1] neg_hi:[0,1]
	v_pk_fma_f32 v[8:9], v[8:9], 0.5, v[22:23] op_sel_hi:[1,0,1] neg_lo:[1,0,0] neg_hi:[1,0,0]
	v_pk_mul_f32 v[10:11], v[10:11], s[2:3] op_sel_hi:[1,0]
	v_pk_add_f32 v[54:55], v[22:23], v[58:59]
	v_pk_add_f32 v[16:17], v[8:9], v[10:11] op_sel:[0,1] op_sel_hi:[1,0] neg_lo:[0,1] neg_hi:[0,1]
	v_pk_add_f32 v[8:9], v[8:9], v[10:11] op_sel:[0,1] op_sel_hi:[1,0]
	v_mov_b32_e32 v10, v16
	v_mov_b32_e32 v11, v9
	v_accvgpr_read_b32 v16, a127
	v_mov_b32_e32 v9, v17
	v_pk_add_f32 v[54:55], v[54:55], v[80:81]
	ds_write_b64 v16, v[8:9] offset:1440
	v_pk_add_f32 v[8:9], v[24:25], v[96:97]
	ds_write2_b64 v16, v[54:55], v[10:11] offset1:90
	v_pk_add_f32 v[8:9], v[8:9], v[88:89]
	v_mov_b32_e32 v10, v98
	v_mov_b32_e32 v11, v91
	v_accvgpr_read_b32 v16, a101
	ds_write2_b64 v16, v[8:9], v[10:11] offset1:90
	v_pk_add_f32 v[8:9], v[12:13], v[76:77]
	v_mov_b32_e32 v91, v99
	v_pk_add_f32 v[8:9], v[8:9], v[78:79]
	v_mov_b32_e32 v10, v94
	v_mov_b32_e32 v11, v93
	v_accvgpr_read_b32 v12, a129
	ds_write_b64 v16, v[90:91] offset:1440
	ds_write2_b64 v12, v[8:9], v[10:11] offset1:90
	v_mov_b32_e32 v93, v95
	v_pk_add_f32 v[8:9], v[14:15], v[74:75]
	ds_write_b64 v12, v[92:93] offset:1440
	v_pk_add_f32 v[8:9], v[8:9], v[72:73]
	v_mov_b32_e32 v10, v70
	v_mov_b32_e32 v11, v53
	v_accvgpr_read_b32 v12, a133
	ds_write2_b64 v12, v[8:9], v[10:11] offset1:90
	v_mov_b32_e32 v53, v71
	v_mov_b32_e32 v8, v60
	;; [unrolled: 1-line block ×3, first 2 shown]
	v_accvgpr_read_b32 v10, a131
	ds_write_b64 v12, v[52:53] offset:1440
	ds_write2_b64 v10, v[4:5], v[8:9] offset1:90
	v_pk_add_f32 v[4:5], v[6:7], v[42:43]
	v_mov_b32_e32 v51, v61
	v_pk_add_f32 v[4:5], v[4:5], v[40:41]
	v_mov_b32_e32 v6, v46
	v_mov_b32_e32 v7, v45
	v_accvgpr_read_b32 v8, a97
	ds_write_b64 v10, v[50:51] offset:1440
	ds_write2_b64 v8, v[4:5], v[6:7] offset1:90
	v_mov_b32_e32 v45, v47
	v_mov_b32_e32 v4, v38
	;; [unrolled: 1-line block ×3, first 2 shown]
	ds_write_b64 v8, v[44:45] offset:1440
	ds_write2_b64 v83, v[0:1], v[4:5] offset1:90
	v_pk_add_f32 v[0:1], v[2:3], v[18:19]
	v_mov_b32_e32 v37, v39
	v_pk_add_f32 v[0:1], v[0:1], v[26:27]
	v_mov_b32_e32 v2, v30
	v_mov_b32_e32 v3, v29
	v_accvgpr_read_b32 v4, a137
	ds_write_b64 v83, v[36:37] offset:1440
	ds_write2_b64 v4, v[0:1], v[2:3] offset0:112 offset1:202
	v_mov_b32_e32 v29, v31
	v_accvgpr_read_b32 v0, a135
	ds_write_b64 v0, v[28:29] offset:18720
	s_waitcnt lgkmcnt(0)
	s_barrier
	ds_read2_b64 v[8:11], v160 offset1:81
	ds_read2_b64 v[0:3], v124 offset0:42 offset1:123
	ds_read2_b64 v[4:7], v123 offset0:84 offset1:165
	v_mov_b32_e32 v98, v82
	s_waitcnt lgkmcnt(1)
	v_pk_mul_f32 v[12:13], v[156:157], v[0:1] op_sel:[1,0]
	s_nop 0
	v_pk_fma_f32 v[46:47], v[156:157], v[0:1], v[12:13] op_sel:[0,0,1] op_sel_hi:[1,1,0]
	v_pk_fma_f32 v[0:1], v[156:157], v[0:1], v[12:13] op_sel:[0,0,1] op_sel_hi:[0,1,0] neg_lo:[0,0,1] neg_hi:[0,0,1]
	v_accvgpr_read_b32 v0, a176
	v_mov_b32_e32 v47, v1
	s_waitcnt lgkmcnt(0)
	v_pk_mul_f32 v[0:1], v[0:1], v[4:5] op_sel_hi:[0,1]
	v_pk_fma_f32 v[60:61], v[158:159], v[4:5], v[0:1] op_sel:[0,0,1] op_sel_hi:[1,1,0]
	v_pk_fma_f32 v[0:1], v[158:159], v[4:5], v[0:1] op_sel:[0,0,1] op_sel_hi:[0,1,0] neg_lo:[0,0,1] neg_hi:[0,0,1]
	v_mov_b32_e32 v61, v1
	v_pk_add_f32 v[0:1], v[8:9], v[46:47]
	s_nop 0
	v_pk_add_f32 v[40:41], v[0:1], v[60:61]
	v_pk_mul_f32 v[0:1], v[152:153], v[2:3] op_sel:[1,0]
	s_nop 0
	v_pk_fma_f32 v[42:43], v[152:153], v[2:3], v[0:1] op_sel:[0,0,1] op_sel_hi:[1,1,0]
	v_pk_fma_f32 v[0:1], v[152:153], v[2:3], v[0:1] op_sel:[0,0,1] op_sel_hi:[0,1,0] neg_lo:[0,0,1] neg_hi:[0,0,1]
	v_accvgpr_read_b32 v0, a180
	v_mov_b32_e32 v43, v1
	v_pk_mul_f32 v[0:1], v[0:1], v[6:7] op_sel_hi:[0,1]
	v_pk_fma_f32 v[44:45], v[154:155], v[6:7], v[0:1] op_sel:[0,0,1] op_sel_hi:[1,1,0]
	v_pk_fma_f32 v[0:1], v[154:155], v[6:7], v[0:1] op_sel:[0,0,1] op_sel_hi:[0,1,0] neg_lo:[0,0,1] neg_hi:[0,0,1]
	ds_read2_b64 v[4:7], v160 offset0:162 offset1:243
	ds_read2_b64 v[18:21], v143 offset0:76 offset1:157
	;; [unrolled: 1-line block ×3, first 2 shown]
	v_mov_b32_e32 v45, v1
	v_pk_add_f32 v[0:1], v[10:11], v[42:43]
	s_nop 0
	v_pk_add_f32 v[50:51], v[0:1], v[44:45]
	s_waitcnt lgkmcnt(1)
	v_pk_mul_f32 v[0:1], v[148:149], v[18:19] op_sel:[1,0]
	s_nop 0
	v_pk_fma_f32 v[48:49], v[148:149], v[18:19], v[0:1] op_sel:[0,0,1] op_sel_hi:[1,1,0]
	v_pk_fma_f32 v[0:1], v[148:149], v[18:19], v[0:1] op_sel:[0,0,1] op_sel_hi:[0,1,0] neg_lo:[0,0,1] neg_hi:[0,0,1]
	v_accvgpr_read_b32 v0, a178
	v_mov_b32_e32 v49, v1
	s_waitcnt lgkmcnt(0)
	v_pk_mul_f32 v[0:1], v[0:1], v[14:15] op_sel_hi:[0,1]
	v_pk_fma_f32 v[52:53], v[150:151], v[14:15], v[0:1] op_sel:[0,0,1] op_sel_hi:[1,1,0]
	v_pk_fma_f32 v[0:1], v[150:151], v[14:15], v[0:1] op_sel:[0,0,1] op_sel_hi:[0,1,0] neg_lo:[0,0,1] neg_hi:[0,0,1]
	v_mov_b32_e32 v53, v1
	v_pk_add_f32 v[0:1], v[4:5], v[48:49]
	s_nop 0
	v_pk_add_f32 v[62:63], v[0:1], v[52:53]
	ds_read2_b64 v[0:3], v107 offset0:136 offset1:217
	ds_read2_b64 v[12:15], v139 offset0:50 offset1:131
	;; [unrolled: 1-line block ×3, first 2 shown]
	s_waitcnt lgkmcnt(1)
	v_pk_mul_f32 v[26:27], v[144:145], v[14:15] op_sel:[1,0]
	s_nop 0
	v_pk_fma_f32 v[18:19], v[144:145], v[14:15], v[26:27] op_sel:[0,0,1] op_sel_hi:[1,1,0]
	v_pk_fma_f32 v[14:15], v[144:145], v[14:15], v[26:27] op_sel:[0,0,1] op_sel_hi:[0,1,0] neg_lo:[0,0,1] neg_hi:[0,0,1]
	v_accvgpr_read_b32 v14, a182
	v_mov_b32_e32 v19, v15
	s_waitcnt lgkmcnt(0)
	v_pk_mul_f32 v[14:15], v[14:15], v[24:25] op_sel_hi:[0,1]
	v_pk_fma_f32 v[28:29], v[146:147], v[24:25], v[14:15] op_sel:[0,0,1] op_sel_hi:[1,1,0]
	v_pk_fma_f32 v[14:15], v[146:147], v[24:25], v[14:15] op_sel:[0,0,1] op_sel_hi:[0,1,0] neg_lo:[0,0,1] neg_hi:[0,0,1]
	v_mov_b32_e32 v29, v15
	v_pk_add_f32 v[14:15], v[18:19], v[28:29]
	v_pk_add_f32 v[24:25], v[18:19], v[28:29] neg_lo:[0,1] neg_hi:[0,1]
	v_pk_fma_f32 v[14:15], v[14:15], 0.5, v[2:3] op_sel_hi:[1,0,1] neg_lo:[1,0,0] neg_hi:[1,0,0]
	v_pk_mul_f32 v[24:25], v[24:25], s[2:3] op_sel_hi:[1,0]
	s_nop 0
	v_pk_add_f32 v[26:27], v[14:15], v[24:25] op_sel:[0,1] op_sel_hi:[1,0]
	v_pk_add_f32 v[30:31], v[14:15], v[24:25] op_sel:[0,1] op_sel_hi:[1,0] neg_lo:[0,1] neg_hi:[0,1]
	v_pk_mul_f32 v[14:15], v[140:141], v[12:13] op_sel:[1,0]
	s_nop 0
	v_pk_fma_f32 v[32:33], v[140:141], v[12:13], v[14:15] op_sel:[0,0,1] op_sel_hi:[1,1,0]
	v_pk_fma_f32 v[12:13], v[140:141], v[12:13], v[14:15] op_sel:[0,0,1] op_sel_hi:[0,1,0] neg_lo:[0,0,1] neg_hi:[0,0,1]
	v_accvgpr_read_b32 v12, a184
	v_mov_b32_e32 v33, v13
	v_pk_mul_f32 v[12:13], v[12:13], v[22:23] op_sel_hi:[0,1]
	v_pk_fma_f32 v[36:37], v[142:143], v[22:23], v[12:13] op_sel:[0,0,1] op_sel_hi:[1,1,0]
	v_pk_fma_f32 v[12:13], v[142:143], v[22:23], v[12:13] op_sel:[0,0,1] op_sel_hi:[0,1,0] neg_lo:[0,0,1] neg_hi:[0,0,1]
	v_mov_b32_e32 v37, v13
	v_pk_add_f32 v[12:13], v[32:33], v[36:37]
	v_pk_add_f32 v[14:15], v[32:33], v[36:37] neg_lo:[0,1] neg_hi:[0,1]
	v_pk_fma_f32 v[12:13], v[12:13], 0.5, v[0:1] op_sel_hi:[1,0,1] neg_lo:[1,0,0] neg_hi:[1,0,0]
	v_pk_mul_f32 v[14:15], v[14:15], s[2:3] op_sel_hi:[1,0]
	v_pk_add_f32 v[0:1], v[0:1], v[32:33]
	v_pk_add_f32 v[34:35], v[12:13], v[14:15] op_sel:[0,1] op_sel_hi:[1,0]
	v_pk_add_f32 v[38:39], v[12:13], v[14:15] op_sel:[0,1] op_sel_hi:[1,0] neg_lo:[0,1] neg_hi:[0,1]
	ds_read2_b64 v[12:15], v159 offset0:102 offset1:183
	ds_read2_b64 v[22:25], v161 offset0:16 offset1:97
	;; [unrolled: 1-line block ×3, first 2 shown]
	v_pk_add_f32 v[0:1], v[0:1], v[36:37]
	s_waitcnt lgkmcnt(1)
	v_pk_mul_f32 v[54:55], v[136:137], v[24:25] op_sel:[1,0]
	s_nop 0
	v_pk_fma_f32 v[64:65], v[136:137], v[24:25], v[54:55] op_sel:[0,0,1] op_sel_hi:[1,1,0]
	v_pk_fma_f32 v[24:25], v[136:137], v[24:25], v[54:55] op_sel:[0,0,1] op_sel_hi:[0,1,0] neg_lo:[0,0,1] neg_hi:[0,0,1]
	v_accvgpr_read_b32 v24, a186
	v_mov_b32_e32 v65, v25
	s_waitcnt lgkmcnt(0)
	v_pk_mul_f32 v[24:25], v[24:25], v[76:77] op_sel_hi:[0,1]
	v_pk_fma_f32 v[68:69], v[138:139], v[76:77], v[24:25] op_sel:[0,0,1] op_sel_hi:[1,1,0]
	v_pk_fma_f32 v[24:25], v[138:139], v[76:77], v[24:25] op_sel:[0,0,1] op_sel_hi:[0,1,0] neg_lo:[0,0,1] neg_hi:[0,0,1]
	v_mov_b32_e32 v69, v25
	v_pk_add_f32 v[24:25], v[64:65], v[68:69]
	v_pk_add_f32 v[54:55], v[64:65], v[68:69] neg_lo:[0,1] neg_hi:[0,1]
	v_pk_fma_f32 v[24:25], v[24:25], 0.5, v[14:15] op_sel_hi:[1,0,1] neg_lo:[1,0,0] neg_hi:[1,0,0]
	v_pk_mul_f32 v[54:55], v[54:55], s[2:3] op_sel_hi:[1,0]
	s_nop 0
	v_pk_add_f32 v[66:67], v[24:25], v[54:55] op_sel:[0,1] op_sel_hi:[1,0]
	v_pk_add_f32 v[70:71], v[24:25], v[54:55] op_sel:[0,1] op_sel_hi:[1,0] neg_lo:[0,1] neg_hi:[0,1]
	v_pk_mul_f32 v[24:25], v[132:133], v[22:23] op_sel:[1,0]
	s_nop 0
	v_pk_fma_f32 v[72:73], v[132:133], v[22:23], v[24:25] op_sel:[0,0,1] op_sel_hi:[1,1,0]
	v_pk_fma_f32 v[22:23], v[132:133], v[22:23], v[24:25] op_sel:[0,0,1] op_sel_hi:[0,1,0] neg_lo:[0,0,1] neg_hi:[0,0,1]
	v_accvgpr_read_b32 v22, a188
	v_mov_b32_e32 v73, v23
	v_pk_mul_f32 v[22:23], v[22:23], v[74:75] op_sel_hi:[0,1]
	v_pk_fma_f32 v[76:77], v[134:135], v[74:75], v[22:23] op_sel:[0,0,1] op_sel_hi:[1,1,0]
	v_pk_fma_f32 v[22:23], v[134:135], v[74:75], v[22:23] op_sel:[0,0,1] op_sel_hi:[0,1,0] neg_lo:[0,0,1] neg_hi:[0,0,1]
	v_mov_b32_e32 v77, v23
	v_pk_add_f32 v[22:23], v[72:73], v[76:77]
	v_pk_add_f32 v[24:25], v[72:73], v[76:77] neg_lo:[0,1] neg_hi:[0,1]
	v_pk_fma_f32 v[22:23], v[22:23], 0.5, v[12:13] op_sel_hi:[1,0,1] neg_lo:[1,0,0] neg_hi:[1,0,0]
	v_pk_mul_f32 v[24:25], v[24:25], s[2:3] op_sel_hi:[1,0]
	s_nop 0
	v_pk_add_f32 v[74:75], v[22:23], v[24:25] op_sel:[0,1] op_sel_hi:[1,0]
	v_pk_add_f32 v[78:79], v[22:23], v[24:25] op_sel:[0,1] op_sel_hi:[1,0] neg_lo:[0,1] neg_hi:[0,1]
	ds_read2_b64 v[22:25], v135 offset0:68 offset1:149
	ds_read2_b64 v[88:91], v131 offset0:110 offset1:191
	;; [unrolled: 1-line block ×3, first 2 shown]
	s_waitcnt lgkmcnt(0)
	s_barrier
	v_pk_mul_f32 v[54:55], v[128:129], v[90:91] op_sel:[1,0]
	s_nop 0
	v_pk_fma_f32 v[84:85], v[128:129], v[90:91], v[54:55] op_sel:[0,0,1] op_sel_hi:[1,1,0]
	v_pk_fma_f32 v[54:55], v[128:129], v[90:91], v[54:55] op_sel:[0,0,1] op_sel_hi:[0,1,0] neg_lo:[0,0,1] neg_hi:[0,0,1]
	v_accvgpr_read_b32 v54, a190
	v_mov_b32_e32 v85, v55
	v_pk_mul_f32 v[54:55], v[54:55], v[94:95] op_sel_hi:[0,1]
	v_pk_fma_f32 v[86:87], v[130:131], v[94:95], v[54:55] op_sel:[0,0,1] op_sel_hi:[1,1,0]
	v_pk_fma_f32 v[54:55], v[130:131], v[94:95], v[54:55] op_sel:[0,0,1] op_sel_hi:[0,1,0] neg_lo:[0,0,1] neg_hi:[0,0,1]
	v_mov_b32_e32 v87, v55
	v_pk_add_f32 v[54:55], v[84:85], v[86:87]
	v_pk_add_f32 v[58:59], v[84:85], v[86:87] neg_lo:[0,1] neg_hi:[0,1]
	v_pk_fma_f32 v[54:55], v[54:55], 0.5, v[24:25] op_sel_hi:[1,0,1] neg_lo:[1,0,0] neg_hi:[1,0,0]
	v_pk_mul_f32 v[58:59], v[58:59], s[2:3] op_sel_hi:[1,0]
	s_nop 0
	v_pk_add_f32 v[80:81], v[54:55], v[58:59] op_sel:[0,1] op_sel_hi:[1,0]
	v_pk_add_f32 v[82:83], v[54:55], v[58:59] op_sel:[0,1] op_sel_hi:[1,0] neg_lo:[0,1] neg_hi:[0,1]
	v_pk_mul_f32 v[54:55], v[104:105], v[88:89] op_sel:[1,0]
	s_nop 0
	v_pk_fma_f32 v[58:59], v[104:105], v[88:89], v[54:55] op_sel:[0,0,1] op_sel_hi:[1,1,0]
	v_pk_fma_f32 v[54:55], v[104:105], v[88:89], v[54:55] op_sel:[0,0,1] op_sel_hi:[0,1,0] neg_lo:[0,0,1] neg_hi:[0,0,1]
	v_accvgpr_read_b32 v54, a192
	v_mov_b32_e32 v59, v55
	v_pk_mul_f32 v[54:55], v[54:55], v[92:93] op_sel_hi:[0,1]
	v_pk_fma_f32 v[88:89], v[106:107], v[92:93], v[54:55] op_sel:[0,0,1] op_sel_hi:[1,1,0]
	v_pk_fma_f32 v[54:55], v[106:107], v[92:93], v[54:55] op_sel:[0,0,1] op_sel_hi:[0,1,0] neg_lo:[0,0,1] neg_hi:[0,0,1]
	v_mov_b32_e32 v89, v55
	v_pk_add_f32 v[54:55], v[58:59], v[88:89]
	v_pk_add_f32 v[90:91], v[58:59], v[88:89] neg_lo:[0,1] neg_hi:[0,1]
	v_pk_fma_f32 v[54:55], v[54:55], 0.5, v[22:23] op_sel_hi:[1,0,1] neg_lo:[1,0,0] neg_hi:[1,0,0]
	v_pk_mul_f32 v[90:91], v[90:91], s[2:3] op_sel_hi:[1,0]
	s_nop 0
	v_pk_add_f32 v[92:93], v[54:55], v[90:91] op_sel:[0,1] op_sel_hi:[1,0]
	v_pk_add_f32 v[54:55], v[54:55], v[90:91] op_sel:[0,1] op_sel_hi:[1,0] neg_lo:[0,1] neg_hi:[0,1]
	v_pk_mul_f32 v[90:91], v[120:121], v[20:21] op_sel:[1,0]
	s_nop 0
	v_pk_fma_f32 v[94:95], v[120:121], v[20:21], v[90:91] op_sel:[0,0,1] op_sel_hi:[1,1,0]
	v_pk_fma_f32 v[20:21], v[120:121], v[20:21], v[90:91] op_sel:[0,0,1] op_sel_hi:[0,1,0] neg_lo:[0,0,1] neg_hi:[0,0,1]
	v_accvgpr_read_b32 v20, a194
	v_mov_b32_e32 v95, v21
	v_pk_mul_f32 v[20:21], v[20:21], v[16:17] op_sel_hi:[0,1]
	v_pk_fma_f32 v[90:91], v[122:123], v[16:17], v[20:21] op_sel:[0,0,1] op_sel_hi:[1,1,0]
	v_pk_fma_f32 v[16:17], v[122:123], v[16:17], v[20:21] op_sel:[0,0,1] op_sel_hi:[0,1,0] neg_lo:[0,0,1] neg_hi:[0,0,1]
	v_pk_add_f32 v[20:21], v[46:47], v[60:61]
	v_mov_b32_e32 v91, v17
	v_pk_fma_f32 v[8:9], v[20:21], 0.5, v[8:9] op_sel_hi:[1,0,1] neg_lo:[1,0,0] neg_hi:[1,0,0]
	v_pk_add_f32 v[20:21], v[46:47], v[60:61] neg_lo:[0,1] neg_hi:[0,1]
	v_pk_add_f32 v[16:17], v[6:7], v[94:95]
	v_pk_mul_f32 v[20:21], v[20:21], s[2:3] op_sel_hi:[1,0]
	v_pk_add_f32 v[16:17], v[16:17], v[90:91]
	v_pk_add_f32 v[46:47], v[8:9], v[20:21] op_sel:[0,1] op_sel_hi:[1,0]
	v_pk_add_f32 v[8:9], v[8:9], v[20:21] op_sel:[0,1] op_sel_hi:[1,0] neg_lo:[0,1] neg_hi:[0,1]
	v_mov_b32_e32 v21, v47
	v_mov_b32_e32 v20, v8
	;; [unrolled: 1-line block ×3, first 2 shown]
	v_pk_add_f32 v[8:9], v[42:43], v[44:45]
	ds_write_b64 v160, v[20:21] offset:2160
	v_pk_fma_f32 v[8:9], v[8:9], 0.5, v[10:11] op_sel_hi:[1,0,1] neg_lo:[1,0,0] neg_hi:[1,0,0]
	v_pk_add_f32 v[10:11], v[42:43], v[44:45] neg_lo:[0,1] neg_hi:[0,1]
	ds_write_b64 v160, v[46:47] offset:4320
	ds_write2_b64 v160, v[40:41], v[50:51] offset1:81
	v_pk_mul_f32 v[10:11], v[10:11], s[2:3] op_sel_hi:[1,0]
	ds_write_b64 v160, v[62:63] offset:1296
	v_pk_add_f32 v[20:21], v[8:9], v[10:11] op_sel:[0,1] op_sel_hi:[1,0]
	v_pk_add_f32 v[8:9], v[8:9], v[10:11] op_sel:[0,1] op_sel_hi:[1,0] neg_lo:[0,1] neg_hi:[0,1]
	v_mov_b32_e32 v11, v21
	v_mov_b32_e32 v10, v8
	;; [unrolled: 1-line block ×3, first 2 shown]
	v_pk_add_f32 v[8:9], v[48:49], v[52:53]
	s_nop 0
	v_pk_fma_f32 v[4:5], v[8:9], 0.5, v[4:5] op_sel_hi:[1,0,1] neg_lo:[1,0,0] neg_hi:[1,0,0]
	v_pk_add_f32 v[8:9], v[48:49], v[52:53] neg_lo:[0,1] neg_hi:[0,1]
	s_nop 0
	v_pk_mul_f32 v[8:9], v[8:9], s[2:3] op_sel_hi:[1,0]
	s_nop 0
	v_pk_add_f32 v[40:41], v[4:5], v[8:9] op_sel:[0,1] op_sel_hi:[1,0]
	v_pk_add_f32 v[4:5], v[4:5], v[8:9] op_sel:[0,1] op_sel_hi:[1,0] neg_lo:[0,1] neg_hi:[0,1]
	v_mov_b32_e32 v9, v41
	v_mov_b32_e32 v8, v4
	;; [unrolled: 1-line block ×3, first 2 shown]
	v_pk_add_f32 v[4:5], v[94:95], v[90:91]
	ds_write2_b64 v135, v[10:11], v[8:9] offset0:95 offset1:176
	v_pk_fma_f32 v[4:5], v[4:5], 0.5, v[6:7] op_sel_hi:[1,0,1] neg_lo:[1,0,0] neg_hi:[1,0,0]
	v_pk_add_f32 v[6:7], v[94:95], v[90:91] neg_lo:[0,1] neg_hi:[0,1]
	ds_write2_b64 v107, v[20:21], v[40:41] offset0:109 offset1:190
	ds_write_b64 v119, v[16:17]
	v_pk_mul_f32 v[6:7], v[6:7], s[2:3] op_sel_hi:[1,0]
	s_nop 0
	v_pk_add_f32 v[8:9], v[4:5], v[6:7] op_sel:[0,1] op_sel_hi:[1,0] neg_lo:[0,1] neg_hi:[0,1]
	v_pk_add_f32 v[4:5], v[4:5], v[6:7] op_sel:[0,1] op_sel_hi:[1,0]
	v_mov_b32_e32 v6, v8
	v_mov_b32_e32 v7, v5
	v_mov_b32_e32 v5, v9
	ds_write_b64 v119, v[4:5] offset:4320
	v_pk_add_f32 v[4:5], v[22:23], v[58:59]
	v_pk_add_f32 v[8:9], v[24:25], v[84:85]
	;; [unrolled: 1-line block ×4, first 2 shown]
	ds_write_b64 v119, v[6:7] offset:2160
	v_mov_b32_e32 v6, v54
	v_mov_b32_e32 v7, v93
	ds_write2_b64 v124, v[4:5], v[8:9] offset0:96 offset1:177
	v_mov_b32_e32 v4, v82
	v_mov_b32_e32 v5, v81
	ds_write2_b64 v131, v[6:7], v[4:5] offset0:110 offset1:191
	v_pk_add_f32 v[4:5], v[12:13], v[72:73]
	v_mov_b32_e32 v93, v55
	v_mov_b32_e32 v81, v83
	v_pk_add_f32 v[4:5], v[4:5], v[76:77]
	ds_write2_b64 v161, v[92:93], v[80:81] offset0:124 offset1:205
	ds_write_b64 v115, v[4:5]
	v_mov_b32_e32 v4, v78
	v_mov_b32_e32 v5, v75
	ds_write_b64 v115, v[4:5] offset:2160
	v_pk_add_f32 v[4:5], v[14:15], v[64:65]
	v_mov_b32_e32 v75, v79
	v_pk_add_f32 v[4:5], v[4:5], v[68:69]
	ds_write_b64 v115, v[74:75] offset:4320
	ds_write_b64 v155, v[4:5] offset:12960
	v_mov_b32_e32 v4, v70
	v_mov_b32_e32 v5, v67
	ds_write_b64 v151, v[0:1] offset:12960
	v_mov_b32_e32 v0, v38
	v_mov_b32_e32 v1, v35
	ds_write_b64 v155, v[4:5] offset:15120
	ds_write_b64 v151, v[0:1] offset:15120
	v_pk_add_f32 v[0:1], v[2:3], v[18:19]
	v_mov_b32_e32 v67, v71
	v_pk_add_f32 v[0:1], v[0:1], v[28:29]
	v_mov_b32_e32 v35, v39
	ds_write_b64 v57, v[0:1] offset:12960
	v_mov_b32_e32 v0, v30
	v_mov_b32_e32 v1, v27
	;; [unrolled: 1-line block ×3, first 2 shown]
	ds_write_b64 v155, v[66:67] offset:17280
	ds_write_b64 v151, v[34:35] offset:17280
	;; [unrolled: 1-line block ×4, first 2 shown]
	s_waitcnt lgkmcnt(0)
	s_barrier
	ds_read2_b64 v[0:3], v160 offset1:81
	ds_read2_b64 v[4:7], v124 offset0:42 offset1:123
	ds_read2_b64 v[8:11], v123 offset0:84 offset1:165
	s_waitcnt lgkmcnt(1)
	v_pk_mul_f32 v[12:13], v[192:193], v[4:5] op_sel:[1,0]
	s_nop 0
	v_pk_fma_f32 v[22:23], v[192:193], v[4:5], v[12:13] op_sel:[0,0,1] op_sel_hi:[1,1,0]
	v_pk_fma_f32 v[4:5], v[192:193], v[4:5], v[12:13] op_sel:[0,0,1] op_sel_hi:[0,1,0] neg_lo:[0,0,1] neg_hi:[0,0,1]
	v_mov_b32_e32 v4, v195
	v_mov_b32_e32 v23, v5
	s_waitcnt lgkmcnt(0)
	v_pk_mul_f32 v[4:5], v[4:5], v[8:9] op_sel_hi:[0,1]
	v_pk_fma_f32 v[28:29], v[194:195], v[8:9], v[4:5] op_sel:[0,0,1] op_sel_hi:[1,1,0]
	v_pk_fma_f32 v[4:5], v[194:195], v[8:9], v[4:5] op_sel:[0,0,1] op_sel_hi:[0,1,0] neg_lo:[0,0,1] neg_hi:[0,0,1]
	v_mov_b32_e32 v29, v5
	v_pk_add_f32 v[4:5], v[0:1], v[22:23]
	s_nop 0
	v_pk_add_f32 v[44:45], v[4:5], v[28:29]
	v_pk_mul_f32 v[4:5], v[196:197], v[6:7] op_sel:[1,0]
	s_nop 0
	v_pk_fma_f32 v[20:21], v[196:197], v[6:7], v[4:5] op_sel:[0,0,1] op_sel_hi:[1,1,0]
	v_pk_fma_f32 v[4:5], v[196:197], v[6:7], v[4:5] op_sel:[0,0,1] op_sel_hi:[0,1,0] neg_lo:[0,0,1] neg_hi:[0,0,1]
	v_mov_b32_e32 v4, v199
	v_mov_b32_e32 v21, v5
	v_pk_mul_f32 v[4:5], v[4:5], v[10:11] op_sel_hi:[0,1]
	v_pk_fma_f32 v[24:25], v[198:199], v[10:11], v[4:5] op_sel:[0,0,1] op_sel_hi:[1,1,0]
	v_pk_fma_f32 v[4:5], v[198:199], v[10:11], v[4:5] op_sel:[0,0,1] op_sel_hi:[0,1,0] neg_lo:[0,0,1] neg_hi:[0,0,1]
	v_mov_b32_e32 v25, v5
	v_pk_add_f32 v[4:5], v[2:3], v[20:21]
	s_nop 0
	v_pk_add_f32 v[46:47], v[4:5], v[24:25]
	ds_read2_b64 v[4:7], v160 offset0:162 offset1:243
	ds_read2_b64 v[8:11], v143 offset0:76 offset1:157
	ds_read2_b64 v[12:15], v98 offset0:118 offset1:199
	s_waitcnt lgkmcnt(1)
	v_pk_mul_f32 v[16:17], v[188:189], v[8:9] op_sel:[1,0]
	s_nop 0
	v_pk_fma_f32 v[26:27], v[188:189], v[8:9], v[16:17] op_sel:[0,0,1] op_sel_hi:[1,1,0]
	v_pk_fma_f32 v[8:9], v[188:189], v[8:9], v[16:17] op_sel:[0,0,1] op_sel_hi:[0,1,0] neg_lo:[0,0,1] neg_hi:[0,0,1]
	v_mov_b32_e32 v8, v191
	v_mov_b32_e32 v27, v9
	s_waitcnt lgkmcnt(0)
	v_pk_mul_f32 v[8:9], v[8:9], v[12:13] op_sel_hi:[0,1]
	v_pk_fma_f32 v[30:31], v[190:191], v[12:13], v[8:9] op_sel:[0,0,1] op_sel_hi:[1,1,0]
	v_pk_fma_f32 v[8:9], v[190:191], v[12:13], v[8:9] op_sel:[0,0,1] op_sel_hi:[0,1,0] neg_lo:[0,0,1] neg_hi:[0,0,1]
	v_mov_b32_e32 v31, v9
	v_pk_add_f32 v[8:9], v[4:5], v[26:27]
	s_nop 0
	v_pk_add_f32 v[48:49], v[8:9], v[30:31]
	v_pk_mul_f32 v[8:9], v[184:185], v[10:11] op_sel:[1,0]
	s_nop 0
	v_pk_fma_f32 v[50:51], v[184:185], v[10:11], v[8:9] op_sel:[0,0,1] op_sel_hi:[1,1,0]
	v_pk_fma_f32 v[8:9], v[184:185], v[10:11], v[8:9] op_sel:[0,0,1] op_sel_hi:[0,1,0] neg_lo:[0,0,1] neg_hi:[0,0,1]
	v_mov_b32_e32 v8, v187
	v_mov_b32_e32 v51, v9
	v_pk_mul_f32 v[8:9], v[8:9], v[14:15] op_sel_hi:[0,1]
	v_pk_fma_f32 v[52:53], v[186:187], v[14:15], v[8:9] op_sel:[0,0,1] op_sel_hi:[1,1,0]
	v_pk_fma_f32 v[8:9], v[186:187], v[14:15], v[8:9] op_sel:[0,0,1] op_sel_hi:[0,1,0] neg_lo:[0,0,1] neg_hi:[0,0,1]
	v_mov_b32_e32 v53, v9
	v_pk_add_f32 v[8:9], v[6:7], v[50:51]
	s_nop 0
	v_pk_add_f32 v[54:55], v[8:9], v[52:53]
	ds_read2_b64 v[8:11], v135 offset0:68 offset1:149
	;; [unrolled: 31-line block ×3, first 2 shown]
	ds_read2_b64 v[16:19], v161 offset0:16 offset1:97
	ds_read2_b64 v[40:43], v147 offset0:58 offset1:139
	ds_write2_b64 v160, v[44:45], v[46:47] offset1:81
	ds_write2_b64 v160, v[48:49], v[54:55] offset0:162 offset1:243
	s_waitcnt lgkmcnt(3)
	v_pk_mul_f32 v[64:65], v[172:173], v[16:17] op_sel:[1,0]
	s_nop 0
	v_pk_fma_f32 v[38:39], v[172:173], v[16:17], v[64:65] op_sel:[0,0,1] op_sel_hi:[1,1,0]
	v_pk_fma_f32 v[16:17], v[172:173], v[16:17], v[64:65] op_sel:[0,0,1] op_sel_hi:[0,1,0] neg_lo:[0,0,1] neg_hi:[0,0,1]
	v_accvgpr_read_b32 v16, a208
	v_mov_b32_e32 v39, v17
	s_waitcnt lgkmcnt(2)
	v_pk_mul_f32 v[16:17], v[16:17], v[40:41] op_sel_hi:[0,1]
	v_pk_fma_f32 v[64:65], v[174:175], v[40:41], v[16:17] op_sel:[0,0,1] op_sel_hi:[1,1,0]
	v_pk_fma_f32 v[16:17], v[174:175], v[40:41], v[16:17] op_sel:[0,0,1] op_sel_hi:[0,1,0] neg_lo:[0,0,1] neg_hi:[0,0,1]
	v_mov_b32_e32 v65, v17
	v_pk_add_f32 v[16:17], v[12:13], v[38:39]
	s_nop 0
	v_pk_add_f32 v[66:67], v[16:17], v[64:65]
	v_pk_mul_f32 v[16:17], v[168:169], v[18:19] op_sel:[1,0]
	s_nop 0
	v_pk_fma_f32 v[48:49], v[168:169], v[18:19], v[16:17] op_sel:[0,0,1] op_sel_hi:[1,1,0]
	v_pk_fma_f32 v[16:17], v[168:169], v[18:19], v[16:17] op_sel:[0,0,1] op_sel_hi:[0,1,0] neg_lo:[0,0,1] neg_hi:[0,0,1]
	v_accvgpr_read_b32 v16, a210
	v_mov_b32_e32 v49, v17
	v_pk_mul_f32 v[16:17], v[16:17], v[42:43] op_sel_hi:[0,1]
	v_pk_fma_f32 v[54:55], v[170:171], v[42:43], v[16:17] op_sel:[0,0,1] op_sel_hi:[1,1,0]
	v_pk_fma_f32 v[16:17], v[170:171], v[42:43], v[16:17] op_sel:[0,0,1] op_sel_hi:[0,1,0] neg_lo:[0,0,1] neg_hi:[0,0,1]
	v_mov_b32_e32 v55, v17
	v_pk_add_f32 v[16:17], v[14:15], v[48:49]
	s_nop 0
	v_pk_add_f32 v[68:69], v[16:17], v[54:55]
	ds_read2_b64 v[16:19], v107 offset0:136 offset1:217
	ds_read2_b64 v[40:43], v139 offset0:50 offset1:131
	;; [unrolled: 1-line block ×3, first 2 shown]
	s_waitcnt lgkmcnt(1)
	v_pk_mul_f32 v[70:71], v[164:165], v[40:41] op_sel:[1,0]
	s_nop 0
	v_pk_fma_f32 v[72:73], v[164:165], v[40:41], v[70:71] op_sel:[0,0,1] op_sel_hi:[1,1,0]
	v_pk_fma_f32 v[40:41], v[164:165], v[40:41], v[70:71] op_sel:[0,0,1] op_sel_hi:[0,1,0] neg_lo:[0,0,1] neg_hi:[0,0,1]
	v_accvgpr_read_b32 v40, a212
	v_mov_b32_e32 v73, v41
	s_waitcnt lgkmcnt(0)
	v_pk_mul_f32 v[40:41], v[40:41], v[44:45] op_sel_hi:[0,1]
	v_pk_fma_f32 v[70:71], v[166:167], v[44:45], v[40:41] op_sel:[0,0,1] op_sel_hi:[1,1,0]
	v_pk_fma_f32 v[40:41], v[166:167], v[44:45], v[40:41] op_sel:[0,0,1] op_sel_hi:[0,1,0] neg_lo:[0,0,1] neg_hi:[0,0,1]
	v_pk_add_f32 v[44:45], v[50:51], v[52:53]
	v_mov_b32_e32 v71, v41
	v_pk_fma_f32 v[6:7], v[44:45], 0.5, v[6:7] op_sel_hi:[1,0,1] neg_lo:[1,0,0] neg_hi:[1,0,0]
	v_pk_add_f32 v[44:45], v[50:51], v[52:53] neg_lo:[0,1] neg_hi:[0,1]
	v_pk_add_f32 v[40:41], v[16:17], v[72:73]
	v_pk_mul_f32 v[44:45], v[44:45], s[2:3] op_sel_hi:[1,0]
	v_pk_add_f32 v[40:41], v[40:41], v[70:71]
	v_pk_add_f32 v[50:51], v[6:7], v[44:45] op_sel:[0,1] op_sel_hi:[1,0] neg_lo:[0,1] neg_hi:[0,1]
	v_pk_add_f32 v[6:7], v[6:7], v[44:45] op_sel:[0,1] op_sel_hi:[1,0]
	v_mov_b32_e32 v44, v50
	v_mov_b32_e32 v45, v7
	;; [unrolled: 1-line block ×3, first 2 shown]
	v_pk_add_f32 v[50:51], v[58:59], v[60:61]
	s_nop 0
	v_pk_fma_f32 v[8:9], v[50:51], 0.5, v[8:9] op_sel_hi:[1,0,1] neg_lo:[1,0,0] neg_hi:[1,0,0]
	v_pk_add_f32 v[50:51], v[58:59], v[60:61] neg_lo:[0,1] neg_hi:[0,1]
	s_nop 0
	v_pk_mul_f32 v[50:51], v[50:51], s[2:3] op_sel_hi:[1,0]
	s_nop 0
	v_pk_add_f32 v[52:53], v[8:9], v[50:51] op_sel:[0,1] op_sel_hi:[1,0] neg_lo:[0,1] neg_hi:[0,1]
	v_pk_add_f32 v[8:9], v[8:9], v[50:51] op_sel:[0,1] op_sel_hi:[1,0]
	v_mov_b32_e32 v50, v52
	v_mov_b32_e32 v51, v9
	;; [unrolled: 1-line block ×3, first 2 shown]
	ds_write_b64 v160, v[8:9] offset:15552
	v_pk_mul_f32 v[8:9], v[100:101], v[42:43] op_sel:[1,0]
	ds_write_b64 v160, v[50:51] offset:9072
	v_pk_fma_f32 v[50:51], v[100:101], v[42:43], v[8:9] op_sel:[0,0,1] op_sel_hi:[1,1,0]
	v_pk_fma_f32 v[8:9], v[100:101], v[42:43], v[8:9] op_sel:[0,0,1] op_sel_hi:[0,1,0] neg_lo:[0,0,1] neg_hi:[0,0,1]
	v_accvgpr_read_b32 v8, a214
	v_mov_b32_e32 v51, v9
	v_pk_mul_f32 v[8:9], v[8:9], v[46:47] op_sel_hi:[0,1]
	v_pk_fma_f32 v[42:43], v[102:103], v[46:47], v[8:9] op_sel:[0,0,1] op_sel_hi:[1,1,0]
	v_pk_fma_f32 v[8:9], v[102:103], v[46:47], v[8:9] op_sel:[0,0,1] op_sel_hi:[0,1,0] neg_lo:[0,0,1] neg_hi:[0,0,1]
	v_pk_add_f32 v[46:47], v[22:23], v[28:29]
	v_pk_add_f32 v[22:23], v[22:23], v[28:29] neg_lo:[0,1] neg_hi:[0,1]
	v_pk_fma_f32 v[0:1], v[46:47], 0.5, v[0:1] op_sel_hi:[1,0,1] neg_lo:[1,0,0] neg_hi:[1,0,0]
	v_pk_mul_f32 v[22:23], v[22:23], s[2:3] op_sel_hi:[1,0]
	v_mov_b32_e32 v43, v9
	v_pk_add_f32 v[28:29], v[0:1], v[22:23] op_sel:[0,1] op_sel_hi:[1,0] neg_lo:[0,1] neg_hi:[0,1]
	v_pk_add_f32 v[0:1], v[0:1], v[22:23] op_sel:[0,1] op_sel_hi:[1,0]
	v_mov_b32_e32 v23, v29
	v_mov_b32_e32 v22, v0
	;; [unrolled: 1-line block ×3, first 2 shown]
	v_pk_add_f32 v[0:1], v[20:21], v[24:25]
	v_pk_add_f32 v[8:9], v[18:19], v[50:51]
	v_pk_fma_f32 v[0:1], v[0:1], 0.5, v[2:3] op_sel_hi:[1,0,1] neg_lo:[1,0,0] neg_hi:[1,0,0]
	v_pk_add_f32 v[2:3], v[20:21], v[24:25] neg_lo:[0,1] neg_hi:[0,1]
	v_pk_add_f32 v[8:9], v[8:9], v[42:43]
	v_pk_mul_f32 v[2:3], v[2:3], s[2:3] op_sel_hi:[1,0]
	s_nop 0
	v_pk_add_f32 v[20:21], v[0:1], v[2:3] op_sel:[0,1] op_sel_hi:[1,0] neg_lo:[0,1] neg_hi:[0,1]
	v_pk_add_f32 v[0:1], v[0:1], v[2:3] op_sel:[0,1] op_sel_hi:[1,0]
	v_mov_b32_e32 v3, v21
	v_mov_b32_e32 v2, v0
	ds_write2_b64 v123, v[22:23], v[2:3] offset0:84 offset1:165
	v_mov_b32_e32 v21, v1
	v_pk_add_f32 v[0:1], v[26:27], v[30:31]
	v_pk_add_f32 v[2:3], v[26:27], v[30:31] neg_lo:[0,1] neg_hi:[0,1]
	v_pk_fma_f32 v[0:1], v[0:1], 0.5, v[4:5] op_sel_hi:[1,0,1] neg_lo:[1,0,0] neg_hi:[1,0,0]
	v_pk_mul_f32 v[2:3], v[2:3], s[2:3] op_sel_hi:[1,0]
	ds_write2_b64 v124, v[28:29], v[20:21] offset0:42 offset1:123
	v_pk_add_f32 v[4:5], v[0:1], v[2:3] op_sel:[0,1] op_sel_hi:[1,0] neg_lo:[0,1] neg_hi:[0,1]
	v_pk_add_f32 v[0:1], v[0:1], v[2:3] op_sel:[0,1] op_sel_hi:[1,0]
	v_mov_b32_e32 v3, v5
	v_mov_b32_e32 v2, v0
	ds_write2_b64 v98, v[2:3], v[6:7] offset0:118 offset1:199
	v_mov_b32_e32 v5, v1
	v_pk_add_f32 v[0:1], v[32:33], v[34:35]
	v_pk_add_f32 v[2:3], v[32:33], v[34:35] neg_lo:[0,1] neg_hi:[0,1]
	v_pk_fma_f32 v[0:1], v[0:1], 0.5, v[10:11] op_sel_hi:[1,0,1] neg_lo:[1,0,0] neg_hi:[1,0,0]
	v_pk_mul_f32 v[2:3], v[2:3], s[2:3] op_sel_hi:[1,0]
	ds_write2_b64 v143, v[4:5], v[44:45] offset0:76 offset1:157
	ds_write2_b64 v135, v[36:37], v[62:63] offset0:68 offset1:149
	v_pk_add_f32 v[4:5], v[0:1], v[2:3] op_sel:[0,1] op_sel_hi:[1,0] neg_lo:[0,1] neg_hi:[0,1]
	v_pk_add_f32 v[0:1], v[0:1], v[2:3] op_sel:[0,1] op_sel_hi:[1,0]
	v_mov_b32_e32 v2, v4
	v_mov_b32_e32 v3, v1
	;; [unrolled: 1-line block ×3, first 2 shown]
	v_pk_add_f32 v[4:5], v[38:39], v[64:65]
	v_pk_add_f32 v[6:7], v[38:39], v[64:65] neg_lo:[0,1] neg_hi:[0,1]
	v_pk_fma_f32 v[4:5], v[4:5], 0.5, v[12:13] op_sel_hi:[1,0,1] neg_lo:[1,0,0] neg_hi:[1,0,0]
	v_pk_mul_f32 v[6:7], v[6:7], s[2:3] op_sel_hi:[1,0]
	v_mov_b32_e32 v30, 0xffffbe30
	v_pk_add_f32 v[10:11], v[4:5], v[6:7] op_sel:[0,1] op_sel_hi:[1,0] neg_lo:[0,1] neg_hi:[0,1]
	v_pk_add_f32 v[4:5], v[4:5], v[6:7] op_sel:[0,1] op_sel_hi:[1,0]
	v_mov_b32_e32 v6, v10
	v_mov_b32_e32 v7, v5
	;; [unrolled: 1-line block ×3, first 2 shown]
	ds_write2_b64 v103, v[2:3], v[6:7] offset0:63 offset1:144
	ds_write2_b64 v167, v[0:1], v[4:5] offset0:105 offset1:186
	;; [unrolled: 1-line block ×3, first 2 shown]
	v_pk_add_f32 v[0:1], v[48:49], v[54:55]
	v_pk_add_f32 v[2:3], v[48:49], v[54:55] neg_lo:[0,1] neg_hi:[0,1]
	v_pk_fma_f32 v[0:1], v[0:1], 0.5, v[14:15] op_sel_hi:[1,0,1] neg_lo:[1,0,0] neg_hi:[1,0,0]
	v_pk_mul_f32 v[2:3], v[2:3], s[2:3] op_sel_hi:[1,0]
	v_mov_b32_e32 v31, 0x798
	v_pk_add_f32 v[4:5], v[0:1], v[2:3] op_sel:[0,1] op_sel_hi:[1,0] neg_lo:[0,1] neg_hi:[0,1]
	v_pk_add_f32 v[0:1], v[0:1], v[2:3] op_sel:[0,1] op_sel_hi:[1,0]
	v_mov_b32_e32 v2, v4
	v_mov_b32_e32 v3, v1
	;; [unrolled: 1-line block ×3, first 2 shown]
	ds_write_b64 v160, v[0:1] offset:17496
	v_pk_add_f32 v[0:1], v[72:73], v[70:71]
	v_pk_add_f32 v[4:5], v[72:73], v[70:71] neg_lo:[0,1] neg_hi:[0,1]
	v_pk_fma_f32 v[0:1], v[0:1], 0.5, v[16:17] op_sel_hi:[1,0,1] neg_lo:[1,0,0] neg_hi:[1,0,0]
	v_pk_mul_f32 v[4:5], v[4:5], s[2:3] op_sel_hi:[1,0]
	s_nop 0
	v_pk_add_f32 v[6:7], v[0:1], v[4:5] op_sel:[0,1] op_sel_hi:[1,0] neg_lo:[0,1] neg_hi:[0,1]
	v_pk_add_f32 v[0:1], v[0:1], v[4:5] op_sel:[0,1] op_sel_hi:[1,0]
	v_mov_b32_e32 v4, v6
	v_mov_b32_e32 v5, v1
	ds_write2_b64 v161, v[2:3], v[4:5] offset0:97 offset1:178
	v_pk_add_f32 v[2:3], v[50:51], v[42:43]
	v_pk_add_f32 v[4:5], v[50:51], v[42:43] neg_lo:[0,1] neg_hi:[0,1]
	v_pk_fma_f32 v[2:3], v[2:3], 0.5, v[18:19] op_sel_hi:[1,0,1] neg_lo:[1,0,0] neg_hi:[1,0,0]
	v_pk_mul_f32 v[4:5], v[4:5], s[2:3] op_sel_hi:[1,0]
	v_mov_b32_e32 v1, v7
	v_pk_add_f32 v[6:7], v[2:3], v[4:5] op_sel:[0,1] op_sel_hi:[1,0] neg_lo:[0,1] neg_hi:[0,1]
	v_pk_add_f32 v[2:3], v[2:3], v[4:5] op_sel:[0,1] op_sel_hi:[1,0]
	v_mov_b32_e32 v4, v6
	v_mov_b32_e32 v5, v3
	;; [unrolled: 1-line block ×3, first 2 shown]
	ds_write2_b64 v107, v[40:41], v[8:9] offset0:136 offset1:217
	ds_write_b64 v160, v[4:5] offset:12312
	ds_write2_b64 v171, v[0:1], v[2:3] offset0:92 offset1:173
	s_waitcnt lgkmcnt(0)
	s_barrier
	ds_read2_b64 v[10:13], v160 offset1:81
	v_accvgpr_read_b32 v2, a40
	v_accvgpr_read_b32 v3, a41
	s_mov_b32 s2, 0x40e53dbc
	s_mov_b32 s3, 0x3f3af834
	s_waitcnt lgkmcnt(0)
	v_mul_f32_e32 v0, v3, v11
	v_fmac_f32_e32 v0, v2, v10
	v_cvt_f64_f32_e32 v[0:1], v0
	v_mul_f64 v[0:1], v[0:1], s[2:3]
	v_cvt_f32_f64_e32 v0, v[0:1]
	v_mul_f32_e32 v1, v3, v10
	v_fma_f32 v1, v2, v11, -v1
	v_cvt_f64_f32_e32 v[2:3], v1
	v_mul_f64 v[2:3], v[2:3], s[2:3]
	v_cvt_f32_f64_e32 v1, v[2:3]
	v_mad_u64_u32 v[2:3], s[4:5], s0, v56, 0
	v_mov_b32_e32 v4, v3
	v_mad_u64_u32 v[4:5], s[4:5], s1, v56, v[4:5]
	v_mov_b32_e32 v3, v4
	v_accvgpr_read_b32 v4, a6
	v_accvgpr_read_b32 v6, a14
	v_accvgpr_read_b32 v5, a7
	v_accvgpr_read_b32 v7, a15
	v_lshl_add_u64 v[4:5], v[6:7], 3, v[4:5]
	v_lshl_add_u64 v[4:5], v[2:3], 3, v[4:5]
	global_store_dwordx2 v[4:5], v[0:1], off
	ds_read2_b64 v[0:3], v160 offset0:162 offset1:243
	v_accvgpr_read_b32 v8, a36
	v_accvgpr_read_b32 v9, a37
	ds_read2_b64 v[14:17], v159 offset0:102 offset1:183
	v_accvgpr_read_b32 v10, a32
	s_waitcnt lgkmcnt(1)
	v_mul_f32_e32 v6, v9, v3
	v_fmac_f32_e32 v6, v8, v2
	v_mul_f32_e32 v2, v9, v2
	v_fma_f32 v2, v8, v3, -v2
	v_cvt_f64_f32_e32 v[6:7], v6
	v_cvt_f64_f32_e32 v[2:3], v2
	v_mul_f64 v[6:7], v[6:7], s[2:3]
	v_mul_f64 v[2:3], v[2:3], s[2:3]
	v_mov_b32_e32 v8, 0x798
	v_cvt_f32_f64_e32 v6, v[6:7]
	v_cvt_f32_f64_e32 v7, v[2:3]
	v_mad_u64_u32 v[2:3], s[4:5], s0, v8, v[4:5]
	s_mul_i32 s4, s1, 0x798
	s_nop 0
	v_add_u32_e32 v3, s4, v3
	global_store_dwordx2 v[2:3], v[6:7], off
	v_accvgpr_read_b32 v6, a26
	v_accvgpr_read_b32 v7, a27
	s_waitcnt lgkmcnt(0)
	v_mul_f32_e32 v4, v7, v15
	v_fmac_f32_e32 v4, v6, v14
	v_cvt_f64_f32_e32 v[4:5], v4
	v_mul_f64 v[4:5], v[4:5], s[2:3]
	v_cvt_f32_f64_e32 v4, v[4:5]
	v_mul_f32_e32 v5, v7, v14
	v_fma_f32 v5, v6, v15, -v5
	v_cvt_f64_f32_e32 v[6:7], v5
	v_mul_f64 v[6:7], v[6:7], s[2:3]
	v_cvt_f32_f64_e32 v5, v[6:7]
	v_mad_u64_u32 v[6:7], s[6:7], s0, v8, v[2:3]
	v_add_u32_e32 v7, s4, v7
	global_store_dwordx2 v[6:7], v[4:5], off
	ds_read2_b64 v[2:5], v107 offset0:136 offset1:217
	v_accvgpr_read_b32 v11, a33
	ds_read2_b64 v[18:21], v143 offset0:76 offset1:157
	v_accvgpr_read_b32 v14, a30
	v_accvgpr_read_b32 v15, a31
	s_waitcnt lgkmcnt(1)
	v_mul_f32_e32 v8, v11, v5
	v_fmac_f32_e32 v8, v10, v4
	v_mul_f32_e32 v4, v11, v4
	v_fma_f32 v4, v10, v5, -v4
	v_cvt_f64_f32_e32 v[8:9], v8
	v_cvt_f64_f32_e32 v[4:5], v4
	v_mul_f64 v[8:9], v[8:9], s[2:3]
	v_mul_f64 v[4:5], v[4:5], s[2:3]
	v_mov_b32_e32 v10, 0x798
	v_cvt_f32_f64_e32 v8, v[8:9]
	v_cvt_f32_f64_e32 v9, v[4:5]
	v_mad_u64_u32 v[4:5], s[6:7], s0, v10, v[6:7]
	v_add_u32_e32 v5, s4, v5
	global_store_dwordx2 v[4:5], v[8:9], off
	v_accvgpr_read_b32 v8, a24
	v_accvgpr_read_b32 v9, a25
	s_waitcnt lgkmcnt(0)
	v_mul_f32_e32 v6, v9, v19
	v_fmac_f32_e32 v6, v8, v18
	v_cvt_f64_f32_e32 v[6:7], v6
	v_mul_f64 v[6:7], v[6:7], s[2:3]
	v_cvt_f32_f64_e32 v6, v[6:7]
	v_mul_f32_e32 v7, v9, v18
	v_fma_f32 v7, v8, v19, -v7
	v_cvt_f64_f32_e32 v[8:9], v7
	v_mul_f64 v[8:9], v[8:9], s[2:3]
	v_cvt_f32_f64_e32 v7, v[8:9]
	v_mad_u64_u32 v[8:9], s[6:7], s0, v10, v[4:5]
	v_add_u32_e32 v9, s4, v9
	global_store_dwordx2 v[8:9], v[6:7], off
	ds_read2_b64 v[4:7], v131 offset0:110 offset1:191
	v_mov_b32_e32 v18, 0x798
	ds_read2_b64 v[22:25], v139 offset0:50 offset1:131
	ds_read2_b64 v[26:29], v175 offset0:152 offset1:233
	s_mulk_i32 s1, 0xbe30
	s_waitcnt lgkmcnt(2)
	v_mul_f32_e32 v10, v15, v7
	v_fmac_f32_e32 v10, v14, v6
	v_mul_f32_e32 v6, v15, v6
	v_fma_f32 v6, v14, v7, -v6
	v_cvt_f64_f32_e32 v[10:11], v10
	v_cvt_f64_f32_e32 v[6:7], v6
	v_mul_f64 v[10:11], v[10:11], s[2:3]
	v_mul_f64 v[6:7], v[6:7], s[2:3]
	v_cvt_f32_f64_e32 v10, v[10:11]
	v_cvt_f32_f64_e32 v11, v[6:7]
	v_mad_u64_u32 v[6:7], s[6:7], s0, v18, v[8:9]
	v_add_u32_e32 v7, s4, v7
	global_store_dwordx2 v[6:7], v[10:11], off
	v_accvgpr_read_b32 v10, a20
	v_accvgpr_read_b32 v11, a21
	s_waitcnt lgkmcnt(1)
	v_mul_f32_e32 v8, v11, v23
	v_fmac_f32_e32 v8, v10, v22
	v_cvt_f64_f32_e32 v[8:9], v8
	v_mul_f64 v[8:9], v[8:9], s[2:3]
	v_cvt_f32_f64_e32 v8, v[8:9]
	v_mul_f32_e32 v9, v11, v22
	v_fma_f32 v9, v10, v23, -v9
	v_cvt_f64_f32_e32 v[10:11], v9
	v_mul_f64 v[10:11], v[10:11], s[2:3]
	v_cvt_f32_f64_e32 v9, v[10:11]
	v_mad_u64_u32 v[10:11], s[6:7], s0, v18, v[6:7]
	v_add_u32_e32 v11, s4, v11
	global_store_dwordx2 v[10:11], v[8:9], off
	ds_read2_b64 v[6:9], v123 offset0:84 offset1:165
	v_accvgpr_read_b32 v18, a28
	v_accvgpr_read_b32 v19, a29
	;; [unrolled: 1-line block ×4, first 2 shown]
	s_waitcnt lgkmcnt(0)
	v_mul_f32_e32 v14, v19, v9
	v_fmac_f32_e32 v14, v18, v8
	v_mul_f32_e32 v8, v19, v8
	v_fma_f32 v8, v18, v9, -v8
	v_cvt_f64_f32_e32 v[14:15], v14
	v_cvt_f64_f32_e32 v[8:9], v8
	v_mul_f64 v[14:15], v[14:15], s[2:3]
	v_mul_f64 v[8:9], v[8:9], s[2:3]
	v_mov_b32_e32 v18, 0x798
	v_cvt_f32_f64_e32 v14, v[14:15]
	v_cvt_f32_f64_e32 v15, v[8:9]
	v_mad_u64_u32 v[8:9], s[6:7], s0, v18, v[10:11]
	v_add_u32_e32 v9, s4, v9
	global_store_dwordx2 v[8:9], v[14:15], off
	v_accvgpr_read_b32 v14, a18
	v_accvgpr_read_b32 v15, a19
	v_mul_f32_e32 v10, v15, v27
	v_fmac_f32_e32 v10, v14, v26
	v_cvt_f64_f32_e32 v[10:11], v10
	v_mul_f64 v[10:11], v[10:11], s[2:3]
	v_cvt_f32_f64_e32 v10, v[10:11]
	v_mul_f32_e32 v11, v15, v26
	v_fma_f32 v11, v14, v27, -v11
	v_cvt_f64_f32_e32 v[14:15], v11
	v_mul_f64 v[14:15], v[14:15], s[2:3]
	v_cvt_f32_f64_e32 v11, v[14:15]
	v_mad_u64_u32 v[14:15], s[6:7], s0, v18, v[8:9]
	v_add_u32_e32 v15, s4, v15
	global_store_dwordx2 v[14:15], v[10:11], off
	ds_read2_b64 v[8:11], v147 offset0:58 offset1:139
	v_mov_b32_e32 v26, 0x798
	s_sub_i32 s1, s1, s0
	s_waitcnt lgkmcnt(0)
	v_mul_f32_e32 v18, v23, v11
	v_fmac_f32_e32 v18, v22, v10
	v_mul_f32_e32 v10, v23, v10
	v_fma_f32 v10, v22, v11, -v10
	v_cvt_f64_f32_e32 v[18:19], v18
	v_cvt_f64_f32_e32 v[10:11], v10
	v_mul_f64 v[18:19], v[18:19], s[2:3]
	v_mul_f64 v[10:11], v[10:11], s[2:3]
	v_cvt_f32_f64_e32 v18, v[18:19]
	v_cvt_f32_f64_e32 v19, v[10:11]
	v_mad_u64_u32 v[10:11], s[6:7], s0, v26, v[14:15]
	v_add_u32_e32 v11, s4, v11
	global_store_dwordx2 v[10:11], v[18:19], off
	v_accvgpr_read_b32 v18, a42
	v_accvgpr_read_b32 v19, a43
	v_mul_f32_e32 v14, v19, v13
	v_fmac_f32_e32 v14, v18, v12
	v_mul_f32_e32 v12, v19, v12
	v_fma_f32 v12, v18, v13, -v12
	v_cvt_f64_f32_e32 v[14:15], v14
	v_cvt_f64_f32_e32 v[12:13], v12
	v_mul_f64 v[14:15], v[14:15], s[2:3]
	v_mul_f64 v[12:13], v[12:13], s[2:3]
	v_cvt_f32_f64_e32 v14, v[14:15]
	v_cvt_f32_f64_e32 v15, v[12:13]
	v_mad_u64_u32 v[18:19], s[6:7], s0, v30, v[10:11]
	ds_read2_b64 v[10:13], v135 offset0:68 offset1:149
	v_accvgpr_read_b32 v22, a38
	v_add_u32_e32 v19, s1, v19
	v_accvgpr_read_b32 v23, a39
	global_store_dwordx2 v[18:19], v[14:15], off
	s_waitcnt lgkmcnt(0)
	v_mul_f32_e32 v14, v23, v11
	v_fmac_f32_e32 v14, v22, v10
	v_mul_f32_e32 v10, v23, v10
	v_fma_f32 v10, v22, v11, -v10
	v_cvt_f64_f32_e32 v[14:15], v14
	v_cvt_f64_f32_e32 v[10:11], v10
	v_mul_f64 v[14:15], v[14:15], s[2:3]
	v_mul_f64 v[10:11], v[10:11], s[2:3]
	v_mov_b32_e32 v22, 0x798
	v_cvt_f32_f64_e32 v14, v[14:15]
	v_cvt_f32_f64_e32 v15, v[10:11]
	v_mad_u64_u32 v[10:11], s[6:7], s0, v22, v[18:19]
	v_accvgpr_read_b32 v18, a34
	v_add_u32_e32 v11, s4, v11
	v_accvgpr_read_b32 v19, a35
	global_store_dwordx2 v[10:11], v[14:15], off
	v_mul_f32_e32 v14, v19, v17
	v_fmac_f32_e32 v14, v18, v16
	v_cvt_f64_f32_e32 v[14:15], v14
	v_mul_f64 v[14:15], v[14:15], s[2:3]
	v_cvt_f32_f64_e32 v14, v[14:15]
	v_mul_f32_e32 v15, v19, v16
	v_fma_f32 v15, v18, v17, -v15
	v_cvt_f64_f32_e32 v[16:17], v15
	v_mul_f64 v[16:17], v[16:17], s[2:3]
	v_mad_u64_u32 v[10:11], s[6:7], s0, v22, v[10:11]
	v_cvt_f32_f64_e32 v15, v[16:17]
	v_add_u32_e32 v11, s4, v11
	global_store_dwordx2 v[10:11], v[14:15], off
	ds_read2_b64 v[14:17], v124 offset0:42 offset1:123
	v_accvgpr_read_b32 v22, a22
	v_accvgpr_read_b32 v23, a23
	v_mov_b32_e32 v26, 0x798
	v_mad_u64_u32 v[10:11], s[6:7], s0, v26, v[10:11]
	s_waitcnt lgkmcnt(0)
	v_mul_f32_e32 v18, v23, v15
	v_fmac_f32_e32 v18, v22, v14
	v_mul_f32_e32 v14, v23, v14
	v_fma_f32 v14, v22, v15, -v14
	v_cvt_f64_f32_e32 v[18:19], v18
	v_cvt_f64_f32_e32 v[14:15], v14
	v_mul_f64 v[18:19], v[18:19], s[2:3]
	v_mul_f64 v[14:15], v[14:15], s[2:3]
	v_cvt_f32_f64_e32 v18, v[18:19]
	v_cvt_f32_f64_e32 v19, v[14:15]
	v_add_u32_e32 v11, s4, v11
	global_store_dwordx2 v[10:11], v[18:19], off
	v_accvgpr_read_b32 v19, a17
	v_accvgpr_read_b32 v18, a16
	v_mul_f32_e32 v14, v19, v21
	v_fmac_f32_e32 v14, v18, v20
	v_cvt_f64_f32_e32 v[14:15], v14
	v_mul_f64 v[14:15], v[14:15], s[2:3]
	v_cvt_f32_f64_e32 v14, v[14:15]
	v_mul_f32_e32 v15, v19, v20
	v_fma_f32 v15, v18, v21, -v15
	v_cvt_f64_f32_e32 v[18:19], v15
	v_mul_f64 v[18:19], v[18:19], s[2:3]
	v_cvt_f32_f64_e32 v15, v[18:19]
	ds_read2_b64 v[18:21], v161 offset0:16 offset1:97
	v_mad_u64_u32 v[10:11], s[6:7], s0, v26, v[10:11]
	v_add_u32_e32 v11, s4, v11
	v_accvgpr_read_b32 v23, a11
	global_store_dwordx2 v[10:11], v[14:15], off
	v_accvgpr_read_b32 v22, a10
	s_waitcnt lgkmcnt(0)
	v_mul_f32_e32 v14, v23, v19
	v_fmac_f32_e32 v14, v22, v18
	v_cvt_f64_f32_e32 v[14:15], v14
	v_mul_f64 v[14:15], v[14:15], s[2:3]
	v_cvt_f32_f64_e32 v14, v[14:15]
	v_mul_f32_e32 v15, v23, v18
	v_fma_f32 v15, v22, v19, -v15
	v_cvt_f64_f32_e32 v[18:19], v15
	v_mov_b32_e32 v22, 0x798
	v_mul_f64 v[18:19], v[18:19], s[2:3]
	v_mad_u64_u32 v[10:11], s[6:7], s0, v22, v[10:11]
	v_cvt_f32_f64_e32 v15, v[18:19]
	v_add_u32_e32 v11, s4, v11
	v_accvgpr_read_b32 v19, a9
	global_store_dwordx2 v[10:11], v[14:15], off
	v_accvgpr_read_b32 v18, a8
	v_mul_f32_e32 v14, v19, v25
	v_fmac_f32_e32 v14, v18, v24
	v_cvt_f64_f32_e32 v[14:15], v14
	v_mul_f64 v[14:15], v[14:15], s[2:3]
	v_cvt_f32_f64_e32 v14, v[14:15]
	v_mul_f32_e32 v15, v19, v24
	v_fma_f32 v15, v18, v25, -v15
	v_mad_u64_u32 v[10:11], s[6:7], s0, v22, v[10:11]
	ds_read2_b64 v[22:25], v98 offset0:118 offset1:199
	v_cvt_f64_f32_e32 v[18:19], v15
	v_mul_f64 v[18:19], v[18:19], s[2:3]
	v_cvt_f32_f64_e32 v15, v[18:19]
	v_add_u32_e32 v11, s4, v11
	v_accvgpr_read_b32 v19, a5
	global_store_dwordx2 v[10:11], v[14:15], off
	v_accvgpr_read_b32 v18, a4
	s_waitcnt lgkmcnt(0)
	v_mul_f32_e32 v14, v19, v23
	v_fmac_f32_e32 v14, v18, v22
	v_cvt_f64_f32_e32 v[14:15], v14
	v_mul_f64 v[14:15], v[14:15], s[2:3]
	v_cvt_f32_f64_e32 v14, v[14:15]
	v_mul_f32_e32 v15, v19, v22
	v_fma_f32 v15, v18, v23, -v15
	v_cvt_f64_f32_e32 v[18:19], v15
	v_mul_f64 v[18:19], v[18:19], s[2:3]
	v_mad_u64_u32 v[10:11], s[6:7], s0, v31, v[10:11]
	v_cvt_f32_f64_e32 v15, v[18:19]
	v_add_u32_e32 v11, s4, v11
	v_accvgpr_read_b32 v19, a3
	global_store_dwordx2 v[10:11], v[14:15], off
	v_accvgpr_read_b32 v18, a2
	v_mul_f32_e32 v14, v19, v29
	v_fmac_f32_e32 v14, v18, v28
	v_cvt_f64_f32_e32 v[14:15], v14
	v_mul_f64 v[14:15], v[14:15], s[2:3]
	v_cvt_f32_f64_e32 v14, v[14:15]
	v_mul_f32_e32 v15, v19, v28
	v_fma_f32 v15, v18, v29, -v15
	ds_read2_b64 v[26:29], v171 offset0:92 offset1:173
	v_cvt_f64_f32_e32 v[18:19], v15
	v_mul_f64 v[18:19], v[18:19], s[2:3]
	v_mad_u64_u32 v[10:11], s[6:7], s0, v31, v[10:11]
	v_cvt_f32_f64_e32 v15, v[18:19]
	v_add_u32_e32 v11, s4, v11
	v_accvgpr_read_b32 v19, a1
	global_store_dwordx2 v[10:11], v[14:15], off
	v_accvgpr_read_b32 v18, a0
	s_waitcnt lgkmcnt(0)
	v_mul_f32_e32 v14, v19, v27
	v_fmac_f32_e32 v14, v18, v26
	v_cvt_f64_f32_e32 v[14:15], v14
	v_mul_f64 v[14:15], v[14:15], s[2:3]
	v_cvt_f32_f64_e32 v14, v[14:15]
	v_mul_f32_e32 v15, v19, v26
	v_fma_f32 v15, v18, v27, -v15
	v_cvt_f64_f32_e32 v[18:19], v15
	v_mul_f64 v[18:19], v[18:19], s[2:3]
	v_cvt_f32_f64_e32 v15, v[18:19]
	v_mad_u64_u32 v[10:11], s[6:7], s0, v31, v[10:11]
	v_accvgpr_read_b32 v18, a44
	v_add_u32_e32 v11, s4, v11
	v_accvgpr_read_b32 v19, a45
	global_store_dwordx2 v[10:11], v[14:15], off
	v_mul_f32_e32 v14, v19, v1
	v_fmac_f32_e32 v14, v18, v0
	v_mul_f32_e32 v0, v19, v0
	v_fma_f32 v0, v18, v1, -v0
	v_cvt_f64_f32_e32 v[14:15], v14
	v_cvt_f64_f32_e32 v[0:1], v0
	v_mul_f64 v[14:15], v[14:15], s[2:3]
	v_mul_f64 v[0:1], v[0:1], s[2:3]
	v_cvt_f32_f64_e32 v14, v[14:15]
	v_cvt_f32_f64_e32 v15, v[0:1]
	v_mad_u64_u32 v[0:1], s[6:7], s0, v30, v[10:11]
	v_add_u32_e32 v1, s1, v1
	global_store_dwordx2 v[0:1], v[14:15], off
	v_accvgpr_read_b32 v14, a46
	v_accvgpr_read_b32 v15, a47
	v_mul_f32_e32 v10, v15, v13
	v_fmac_f32_e32 v10, v14, v12
	v_cvt_f64_f32_e32 v[10:11], v10
	v_mul_f64 v[10:11], v[10:11], s[2:3]
	v_cvt_f32_f64_e32 v10, v[10:11]
	v_mul_f32_e32 v11, v15, v12
	v_fma_f32 v11, v14, v13, -v11
	v_cvt_f64_f32_e32 v[12:13], v11
	v_mul_f64 v[12:13], v[12:13], s[2:3]
	v_cvt_f32_f64_e32 v11, v[12:13]
	v_mad_u64_u32 v[0:1], s[6:7], s0, v31, v[0:1]
	v_accvgpr_read_b32 v12, a50
	v_add_u32_e32 v1, s4, v1
	v_accvgpr_read_b32 v13, a51
	global_store_dwordx2 v[0:1], v[10:11], off
	v_mul_f32_e32 v10, v13, v3
	v_fmac_f32_e32 v10, v12, v2
	v_mul_f32_e32 v2, v13, v2
	v_fma_f32 v2, v12, v3, -v2
	v_cvt_f64_f32_e32 v[10:11], v10
	v_cvt_f64_f32_e32 v[2:3], v2
	v_mul_f64 v[10:11], v[10:11], s[2:3]
	v_mul_f64 v[2:3], v[2:3], s[2:3]
	v_mad_u64_u32 v[0:1], s[6:7], s0, v31, v[0:1]
	v_cvt_f32_f64_e32 v10, v[10:11]
	v_cvt_f32_f64_e32 v11, v[2:3]
	v_add_u32_e32 v1, s4, v1
	global_store_dwordx2 v[0:1], v[10:11], off
	v_accvgpr_read_b32 v10, a48
	v_accvgpr_read_b32 v11, a49
	v_mul_f32_e32 v2, v11, v17
	v_fmac_f32_e32 v2, v10, v16
	v_cvt_f64_f32_e32 v[2:3], v2
	v_mul_f64 v[2:3], v[2:3], s[2:3]
	v_cvt_f32_f64_e32 v2, v[2:3]
	v_mul_f32_e32 v3, v11, v16
	v_fma_f32 v3, v10, v17, -v3
	v_cvt_f64_f32_e32 v[10:11], v3
	v_mul_f64 v[10:11], v[10:11], s[2:3]
	v_cvt_f32_f64_e32 v3, v[10:11]
	v_mad_u64_u32 v[0:1], s[6:7], s0, v31, v[0:1]
	v_accvgpr_read_b32 v10, a52
	v_add_u32_e32 v1, s4, v1
	v_accvgpr_read_b32 v11, a53
	global_store_dwordx2 v[0:1], v[2:3], off
	v_mul_f32_e32 v2, v11, v5
	v_fmac_f32_e32 v2, v10, v4
	v_cvt_f64_f32_e32 v[2:3], v2
	v_mul_f64 v[2:3], v[2:3], s[2:3]
	v_cvt_f32_f64_e32 v2, v[2:3]
	v_mul_f32_e32 v3, v11, v4
	v_fma_f32 v3, v10, v5, -v3
	v_cvt_f64_f32_e32 v[4:5], v3
	v_mul_f64 v[4:5], v[4:5], s[2:3]
	v_cvt_f32_f64_e32 v3, v[4:5]
	v_mad_u64_u32 v[0:1], s[6:7], s0, v31, v[0:1]
	v_accvgpr_read_b32 v4, a54
	v_add_u32_e32 v1, s4, v1
	v_accvgpr_read_b32 v5, a55
	global_store_dwordx2 v[0:1], v[2:3], off
	;; [unrolled: 15-line block ×6, first 2 shown]
	v_mul_f32_e32 v2, v5, v29
	v_fmac_f32_e32 v2, v4, v28
	v_cvt_f64_f32_e32 v[2:3], v2
	v_mul_f64 v[2:3], v[2:3], s[2:3]
	v_cvt_f32_f64_e32 v2, v[2:3]
	v_mul_f32_e32 v3, v5, v28
	v_fma_f32 v3, v4, v29, -v3
	v_cvt_f64_f32_e32 v[4:5], v3
	v_mul_f64 v[4:5], v[4:5], s[2:3]
	v_mad_u64_u32 v[0:1], s[0:1], s0, v31, v[0:1]
	v_cvt_f32_f64_e32 v3, v[4:5]
	v_add_u32_e32 v1, s4, v1
	global_store_dwordx2 v[0:1], v[2:3], off
.LBB0_2:
	s_endpgm
	.section	.rodata,"a",@progbits
	.p2align	6, 0x0
	.amdhsa_kernel bluestein_single_fwd_len2430_dim1_sp_op_CI_CI
		.amdhsa_group_segment_fixed_size 19440
		.amdhsa_private_segment_fixed_size 0
		.amdhsa_kernarg_size 104
		.amdhsa_user_sgpr_count 2
		.amdhsa_user_sgpr_dispatch_ptr 0
		.amdhsa_user_sgpr_queue_ptr 0
		.amdhsa_user_sgpr_kernarg_segment_ptr 1
		.amdhsa_user_sgpr_dispatch_id 0
		.amdhsa_user_sgpr_kernarg_preload_length 0
		.amdhsa_user_sgpr_kernarg_preload_offset 0
		.amdhsa_user_sgpr_private_segment_size 0
		.amdhsa_uses_dynamic_stack 0
		.amdhsa_enable_private_segment 0
		.amdhsa_system_sgpr_workgroup_id_x 1
		.amdhsa_system_sgpr_workgroup_id_y 0
		.amdhsa_system_sgpr_workgroup_id_z 0
		.amdhsa_system_sgpr_workgroup_info 0
		.amdhsa_system_vgpr_workitem_id 0
		.amdhsa_next_free_vgpr 471
		.amdhsa_next_free_sgpr 21
		.amdhsa_accum_offset 256
		.amdhsa_reserve_vcc 1
		.amdhsa_float_round_mode_32 0
		.amdhsa_float_round_mode_16_64 0
		.amdhsa_float_denorm_mode_32 3
		.amdhsa_float_denorm_mode_16_64 3
		.amdhsa_dx10_clamp 1
		.amdhsa_ieee_mode 1
		.amdhsa_fp16_overflow 0
		.amdhsa_tg_split 0
		.amdhsa_exception_fp_ieee_invalid_op 0
		.amdhsa_exception_fp_denorm_src 0
		.amdhsa_exception_fp_ieee_div_zero 0
		.amdhsa_exception_fp_ieee_overflow 0
		.amdhsa_exception_fp_ieee_underflow 0
		.amdhsa_exception_fp_ieee_inexact 0
		.amdhsa_exception_int_div_zero 0
	.end_amdhsa_kernel
	.text
.Lfunc_end0:
	.size	bluestein_single_fwd_len2430_dim1_sp_op_CI_CI, .Lfunc_end0-bluestein_single_fwd_len2430_dim1_sp_op_CI_CI
                                        ; -- End function
	.section	.AMDGPU.csdata,"",@progbits
; Kernel info:
; codeLenInByte = 34492
; NumSgprs: 27
; NumVgprs: 256
; NumAgprs: 215
; TotalNumVgprs: 471
; ScratchSize: 0
; MemoryBound: 0
; FloatMode: 240
; IeeeMode: 1
; LDSByteSize: 19440 bytes/workgroup (compile time only)
; SGPRBlocks: 3
; VGPRBlocks: 58
; NumSGPRsForWavesPerEU: 27
; NumVGPRsForWavesPerEU: 471
; AccumOffset: 256
; Occupancy: 1
; WaveLimiterHint : 1
; COMPUTE_PGM_RSRC2:SCRATCH_EN: 0
; COMPUTE_PGM_RSRC2:USER_SGPR: 2
; COMPUTE_PGM_RSRC2:TRAP_HANDLER: 0
; COMPUTE_PGM_RSRC2:TGID_X_EN: 1
; COMPUTE_PGM_RSRC2:TGID_Y_EN: 0
; COMPUTE_PGM_RSRC2:TGID_Z_EN: 0
; COMPUTE_PGM_RSRC2:TIDIG_COMP_CNT: 0
; COMPUTE_PGM_RSRC3_GFX90A:ACCUM_OFFSET: 63
; COMPUTE_PGM_RSRC3_GFX90A:TG_SPLIT: 0
	.text
	.p2alignl 6, 3212836864
	.fill 256, 4, 3212836864
	.type	__hip_cuid_ac33cb1344e2db84,@object ; @__hip_cuid_ac33cb1344e2db84
	.section	.bss,"aw",@nobits
	.globl	__hip_cuid_ac33cb1344e2db84
__hip_cuid_ac33cb1344e2db84:
	.byte	0                               ; 0x0
	.size	__hip_cuid_ac33cb1344e2db84, 1

	.ident	"AMD clang version 19.0.0git (https://github.com/RadeonOpenCompute/llvm-project roc-6.4.0 25133 c7fe45cf4b819c5991fe208aaa96edf142730f1d)"
	.section	".note.GNU-stack","",@progbits
	.addrsig
	.addrsig_sym __hip_cuid_ac33cb1344e2db84
	.amdgpu_metadata
---
amdhsa.kernels:
  - .agpr_count:     215
    .args:
      - .actual_access:  read_only
        .address_space:  global
        .offset:         0
        .size:           8
        .value_kind:     global_buffer
      - .actual_access:  read_only
        .address_space:  global
        .offset:         8
        .size:           8
        .value_kind:     global_buffer
      - .actual_access:  read_only
        .address_space:  global
        .offset:         16
        .size:           8
        .value_kind:     global_buffer
      - .actual_access:  read_only
        .address_space:  global
        .offset:         24
        .size:           8
        .value_kind:     global_buffer
      - .actual_access:  read_only
        .address_space:  global
        .offset:         32
        .size:           8
        .value_kind:     global_buffer
      - .offset:         40
        .size:           8
        .value_kind:     by_value
      - .address_space:  global
        .offset:         48
        .size:           8
        .value_kind:     global_buffer
      - .address_space:  global
        .offset:         56
        .size:           8
        .value_kind:     global_buffer
      - .address_space:  global
        .offset:         64
        .size:           8
        .value_kind:     global_buffer
      - .address_space:  global
        .offset:         72
        .size:           8
        .value_kind:     global_buffer
      - .offset:         80
        .size:           4
        .value_kind:     by_value
      - .address_space:  global
        .offset:         88
        .size:           8
        .value_kind:     global_buffer
      - .address_space:  global
        .offset:         96
        .size:           8
        .value_kind:     global_buffer
    .group_segment_fixed_size: 19440
    .kernarg_segment_align: 8
    .kernarg_segment_size: 104
    .language:       OpenCL C
    .language_version:
      - 2
      - 0
    .max_flat_workgroup_size: 81
    .name:           bluestein_single_fwd_len2430_dim1_sp_op_CI_CI
    .private_segment_fixed_size: 0
    .sgpr_count:     27
    .sgpr_spill_count: 0
    .symbol:         bluestein_single_fwd_len2430_dim1_sp_op_CI_CI.kd
    .uniform_work_group_size: 1
    .uses_dynamic_stack: false
    .vgpr_count:     471
    .vgpr_spill_count: 0
    .wavefront_size: 64
amdhsa.target:   amdgcn-amd-amdhsa--gfx950
amdhsa.version:
  - 1
  - 2
...

	.end_amdgpu_metadata
